;; amdgpu-corpus repo=ROCm/rocFFT kind=compiled arch=gfx906 opt=O3
	.text
	.amdgcn_target "amdgcn-amd-amdhsa--gfx906"
	.amdhsa_code_object_version 6
	.protected	fft_rtc_fwd_len2880_factors_10_6_6_2_2_2_wgs_96_tpt_96_halfLds_sp_op_CI_CI_unitstride_sbrr_C2R_dirReg ; -- Begin function fft_rtc_fwd_len2880_factors_10_6_6_2_2_2_wgs_96_tpt_96_halfLds_sp_op_CI_CI_unitstride_sbrr_C2R_dirReg
	.globl	fft_rtc_fwd_len2880_factors_10_6_6_2_2_2_wgs_96_tpt_96_halfLds_sp_op_CI_CI_unitstride_sbrr_C2R_dirReg
	.p2align	8
	.type	fft_rtc_fwd_len2880_factors_10_6_6_2_2_2_wgs_96_tpt_96_halfLds_sp_op_CI_CI_unitstride_sbrr_C2R_dirReg,@function
fft_rtc_fwd_len2880_factors_10_6_6_2_2_2_wgs_96_tpt_96_halfLds_sp_op_CI_CI_unitstride_sbrr_C2R_dirReg: ; @fft_rtc_fwd_len2880_factors_10_6_6_2_2_2_wgs_96_tpt_96_halfLds_sp_op_CI_CI_unitstride_sbrr_C2R_dirReg
; %bb.0:
	s_load_dwordx4 s[8:11], s[4:5], 0x58
	s_load_dwordx4 s[12:15], s[4:5], 0x0
	;; [unrolled: 1-line block ×3, first 2 shown]
	v_mul_u32_u24_e32 v1, 0x2ab, v0
	v_add_u32_sdwa v5, s6, v1 dst_sel:DWORD dst_unused:UNUSED_PAD src0_sel:DWORD src1_sel:WORD_1
	v_mov_b32_e32 v3, 0
	s_waitcnt lgkmcnt(0)
	v_cmp_lt_u64_e64 s[0:1], s[14:15], 2
	v_mov_b32_e32 v1, 0
	v_mov_b32_e32 v6, v3
	s_and_b64 vcc, exec, s[0:1]
	v_mov_b32_e32 v2, 0
	s_cbranch_vccnz .LBB0_8
; %bb.1:
	s_load_dwordx2 s[0:1], s[4:5], 0x10
	s_add_u32 s2, s18, 8
	s_addc_u32 s3, s19, 0
	s_add_u32 s6, s16, 8
	v_mov_b32_e32 v1, 0
	s_addc_u32 s7, s17, 0
	v_mov_b32_e32 v2, 0
	s_waitcnt lgkmcnt(0)
	s_add_u32 s20, s0, 8
	v_mov_b32_e32 v61, v2
	s_addc_u32 s21, s1, 0
	s_mov_b64 s[22:23], 1
	v_mov_b32_e32 v60, v1
.LBB0_2:                                ; =>This Inner Loop Header: Depth=1
	s_load_dwordx2 s[24:25], s[20:21], 0x0
                                        ; implicit-def: $vgpr64_vgpr65
	s_waitcnt lgkmcnt(0)
	v_or_b32_e32 v4, s25, v6
	v_cmp_ne_u64_e32 vcc, 0, v[3:4]
	s_and_saveexec_b64 s[0:1], vcc
	s_xor_b64 s[26:27], exec, s[0:1]
	s_cbranch_execz .LBB0_4
; %bb.3:                                ;   in Loop: Header=BB0_2 Depth=1
	v_cvt_f32_u32_e32 v4, s24
	v_cvt_f32_u32_e32 v7, s25
	s_sub_u32 s0, 0, s24
	s_subb_u32 s1, 0, s25
	v_mac_f32_e32 v4, 0x4f800000, v7
	v_rcp_f32_e32 v4, v4
	v_mul_f32_e32 v4, 0x5f7ffffc, v4
	v_mul_f32_e32 v7, 0x2f800000, v4
	v_trunc_f32_e32 v7, v7
	v_mac_f32_e32 v4, 0xcf800000, v7
	v_cvt_u32_f32_e32 v7, v7
	v_cvt_u32_f32_e32 v4, v4
	v_mul_lo_u32 v8, s0, v7
	v_mul_hi_u32 v9, s0, v4
	v_mul_lo_u32 v11, s1, v4
	v_mul_lo_u32 v10, s0, v4
	v_add_u32_e32 v8, v9, v8
	v_add_u32_e32 v8, v8, v11
	v_mul_hi_u32 v9, v4, v10
	v_mul_lo_u32 v11, v4, v8
	v_mul_hi_u32 v13, v4, v8
	v_mul_hi_u32 v12, v7, v10
	v_mul_lo_u32 v10, v7, v10
	v_mul_hi_u32 v14, v7, v8
	v_add_co_u32_e32 v9, vcc, v9, v11
	v_addc_co_u32_e32 v11, vcc, 0, v13, vcc
	v_mul_lo_u32 v8, v7, v8
	v_add_co_u32_e32 v9, vcc, v9, v10
	v_addc_co_u32_e32 v9, vcc, v11, v12, vcc
	v_addc_co_u32_e32 v10, vcc, 0, v14, vcc
	v_add_co_u32_e32 v8, vcc, v9, v8
	v_addc_co_u32_e32 v9, vcc, 0, v10, vcc
	v_add_co_u32_e32 v4, vcc, v4, v8
	v_addc_co_u32_e32 v7, vcc, v7, v9, vcc
	v_mul_lo_u32 v8, s0, v7
	v_mul_hi_u32 v9, s0, v4
	v_mul_lo_u32 v10, s1, v4
	v_mul_lo_u32 v11, s0, v4
	v_add_u32_e32 v8, v9, v8
	v_add_u32_e32 v8, v8, v10
	v_mul_lo_u32 v12, v4, v8
	v_mul_hi_u32 v13, v4, v11
	v_mul_hi_u32 v14, v4, v8
	v_mul_hi_u32 v10, v7, v11
	v_mul_lo_u32 v11, v7, v11
	v_mul_hi_u32 v9, v7, v8
	v_add_co_u32_e32 v12, vcc, v13, v12
	v_addc_co_u32_e32 v13, vcc, 0, v14, vcc
	v_mul_lo_u32 v8, v7, v8
	v_add_co_u32_e32 v11, vcc, v12, v11
	v_addc_co_u32_e32 v10, vcc, v13, v10, vcc
	v_addc_co_u32_e32 v9, vcc, 0, v9, vcc
	v_add_co_u32_e32 v8, vcc, v10, v8
	v_addc_co_u32_e32 v9, vcc, 0, v9, vcc
	v_add_co_u32_e32 v4, vcc, v4, v8
	v_addc_co_u32_e32 v9, vcc, v7, v9, vcc
	v_mad_u64_u32 v[7:8], s[0:1], v5, v9, 0
	v_mul_hi_u32 v10, v5, v4
	v_add_co_u32_e32 v11, vcc, v10, v7
	v_addc_co_u32_e32 v12, vcc, 0, v8, vcc
	v_mad_u64_u32 v[7:8], s[0:1], v6, v4, 0
	v_mad_u64_u32 v[9:10], s[0:1], v6, v9, 0
	v_add_co_u32_e32 v4, vcc, v11, v7
	v_addc_co_u32_e32 v4, vcc, v12, v8, vcc
	v_addc_co_u32_e32 v7, vcc, 0, v10, vcc
	v_add_co_u32_e32 v4, vcc, v4, v9
	v_addc_co_u32_e32 v9, vcc, 0, v7, vcc
	v_mul_lo_u32 v10, s25, v4
	v_mul_lo_u32 v11, s24, v9
	v_mad_u64_u32 v[7:8], s[0:1], s24, v4, 0
	v_add3_u32 v8, v8, v11, v10
	v_sub_u32_e32 v10, v6, v8
	v_mov_b32_e32 v11, s25
	v_sub_co_u32_e32 v7, vcc, v5, v7
	v_subb_co_u32_e64 v10, s[0:1], v10, v11, vcc
	v_subrev_co_u32_e64 v11, s[0:1], s24, v7
	v_subbrev_co_u32_e64 v10, s[0:1], 0, v10, s[0:1]
	v_cmp_le_u32_e64 s[0:1], s25, v10
	v_cndmask_b32_e64 v12, 0, -1, s[0:1]
	v_cmp_le_u32_e64 s[0:1], s24, v11
	v_cndmask_b32_e64 v11, 0, -1, s[0:1]
	v_cmp_eq_u32_e64 s[0:1], s25, v10
	v_cndmask_b32_e64 v10, v12, v11, s[0:1]
	v_add_co_u32_e64 v11, s[0:1], 2, v4
	v_addc_co_u32_e64 v12, s[0:1], 0, v9, s[0:1]
	v_add_co_u32_e64 v13, s[0:1], 1, v4
	v_addc_co_u32_e64 v14, s[0:1], 0, v9, s[0:1]
	v_subb_co_u32_e32 v8, vcc, v6, v8, vcc
	v_cmp_ne_u32_e64 s[0:1], 0, v10
	v_cmp_le_u32_e32 vcc, s25, v8
	v_cndmask_b32_e64 v10, v14, v12, s[0:1]
	v_cndmask_b32_e64 v12, 0, -1, vcc
	v_cmp_le_u32_e32 vcc, s24, v7
	v_cndmask_b32_e64 v7, 0, -1, vcc
	v_cmp_eq_u32_e32 vcc, s25, v8
	v_cndmask_b32_e32 v7, v12, v7, vcc
	v_cmp_ne_u32_e32 vcc, 0, v7
	v_cndmask_b32_e64 v7, v13, v11, s[0:1]
	v_cndmask_b32_e32 v65, v9, v10, vcc
	v_cndmask_b32_e32 v64, v4, v7, vcc
.LBB0_4:                                ;   in Loop: Header=BB0_2 Depth=1
	s_andn2_saveexec_b64 s[0:1], s[26:27]
	s_cbranch_execz .LBB0_6
; %bb.5:                                ;   in Loop: Header=BB0_2 Depth=1
	v_cvt_f32_u32_e32 v4, s24
	s_sub_i32 s26, 0, s24
	v_mov_b32_e32 v65, v3
	v_rcp_iflag_f32_e32 v4, v4
	v_mul_f32_e32 v4, 0x4f7ffffe, v4
	v_cvt_u32_f32_e32 v4, v4
	v_mul_lo_u32 v7, s26, v4
	v_mul_hi_u32 v7, v4, v7
	v_add_u32_e32 v4, v4, v7
	v_mul_hi_u32 v4, v5, v4
	v_mul_lo_u32 v7, v4, s24
	v_add_u32_e32 v8, 1, v4
	v_sub_u32_e32 v7, v5, v7
	v_subrev_u32_e32 v9, s24, v7
	v_cmp_le_u32_e32 vcc, s24, v7
	v_cndmask_b32_e32 v7, v7, v9, vcc
	v_cndmask_b32_e32 v4, v4, v8, vcc
	v_add_u32_e32 v8, 1, v4
	v_cmp_le_u32_e32 vcc, s24, v7
	v_cndmask_b32_e32 v64, v4, v8, vcc
.LBB0_6:                                ;   in Loop: Header=BB0_2 Depth=1
	s_or_b64 exec, exec, s[0:1]
	v_mul_lo_u32 v4, v65, s24
	v_mul_lo_u32 v9, v64, s25
	v_mad_u64_u32 v[7:8], s[0:1], v64, s24, 0
	s_load_dwordx2 s[0:1], s[6:7], 0x0
	s_load_dwordx2 s[24:25], s[2:3], 0x0
	v_add3_u32 v4, v8, v9, v4
	v_sub_co_u32_e32 v5, vcc, v5, v7
	v_subb_co_u32_e32 v4, vcc, v6, v4, vcc
	s_waitcnt lgkmcnt(0)
	v_mul_lo_u32 v6, s0, v4
	v_mul_lo_u32 v7, s1, v5
	v_mad_u64_u32 v[1:2], s[0:1], s0, v5, v[1:2]
	v_mul_lo_u32 v4, s24, v4
	v_mul_lo_u32 v8, s25, v5
	v_mad_u64_u32 v[60:61], s[0:1], s24, v5, v[60:61]
	s_add_u32 s22, s22, 1
	s_addc_u32 s23, s23, 0
	s_add_u32 s2, s2, 8
	v_add3_u32 v61, v8, v61, v4
	s_addc_u32 s3, s3, 0
	v_mov_b32_e32 v4, s14
	s_add_u32 s6, s6, 8
	v_mov_b32_e32 v5, s15
	s_addc_u32 s7, s7, 0
	v_cmp_ge_u64_e32 vcc, s[22:23], v[4:5]
	s_add_u32 s20, s20, 8
	v_add3_u32 v2, v7, v2, v6
	s_addc_u32 s21, s21, 0
	s_cbranch_vccnz .LBB0_9
; %bb.7:                                ;   in Loop: Header=BB0_2 Depth=1
	v_mov_b32_e32 v5, v64
	v_mov_b32_e32 v6, v65
	s_branch .LBB0_2
.LBB0_8:
	v_mov_b32_e32 v61, v2
	v_mov_b32_e32 v65, v6
	;; [unrolled: 1-line block ×4, first 2 shown]
.LBB0_9:
	s_load_dwordx2 s[4:5], s[4:5], 0x28
	s_lshl_b64 s[6:7], s[14:15], 3
	s_add_u32 s2, s18, s6
	s_addc_u32 s3, s19, s7
                                        ; implicit-def: $vgpr62
                                        ; implicit-def: $vgpr3_vgpr4
	s_waitcnt lgkmcnt(0)
	v_cmp_gt_u64_e64 s[0:1], s[4:5], v[64:65]
	v_cmp_le_u64_e32 vcc, s[4:5], v[64:65]
	s_and_saveexec_b64 s[4:5], vcc
	s_xor_b64 s[4:5], exec, s[4:5]
; %bb.10:
	s_mov_b32 s14, 0x2aaaaab
	v_mul_hi_u32 v1, v0, s14
	v_mov_b32_e32 v63, 0
	v_mul_u32_u24_e32 v1, 0x60, v1
	v_sub_u32_e32 v62, v0, v1
	v_mov_b32_e32 v3, v62
	v_mov_b32_e32 v4, v63
                                        ; implicit-def: $vgpr0
                                        ; implicit-def: $vgpr1_vgpr2
; %bb.11:
	s_or_saveexec_b64 s[4:5], s[4:5]
	s_load_dwordx2 s[2:3], s[2:3], 0x0
	s_xor_b64 exec, exec, s[4:5]
	s_cbranch_execz .LBB0_15
; %bb.12:
	s_add_u32 s6, s16, s6
	s_addc_u32 s7, s17, s7
	s_load_dwordx2 s[6:7], s[6:7], 0x0
	s_mov_b32 s14, 0x2aaaaab
	v_mul_hi_u32 v5, v0, s14
	v_lshlrev_b64 v[1:2], 3, v[1:2]
	s_waitcnt lgkmcnt(0)
	v_mul_lo_u32 v6, s7, v64
	v_mul_lo_u32 v7, s6, v65
	v_mad_u64_u32 v[3:4], s[6:7], s6, v64, 0
	v_mul_u32_u24_e32 v5, 0x60, v5
	v_sub_u32_e32 v62, v0, v5
	v_add3_u32 v4, v4, v7, v6
	v_lshlrev_b64 v[3:4], 3, v[3:4]
	v_mov_b32_e32 v0, s9
	v_add_co_u32_e32 v3, vcc, s8, v3
	v_addc_co_u32_e32 v0, vcc, v0, v4, vcc
	v_add_co_u32_e32 v1, vcc, v3, v1
	v_addc_co_u32_e32 v0, vcc, v0, v2, vcc
	v_lshlrev_b32_e32 v63, 3, v62
	v_add_co_u32_e32 v2, vcc, v1, v63
	v_addc_co_u32_e32 v3, vcc, 0, v0, vcc
	s_movk_i32 s6, 0x1000
	v_add_co_u32_e32 v6, vcc, s6, v2
	v_addc_co_u32_e32 v7, vcc, 0, v3, vcc
	v_or_b32_e32 v16, 0x1800, v63
	v_add_co_u32_e32 v16, vcc, v1, v16
	v_addc_co_u32_e32 v17, vcc, 0, v0, vcc
	s_movk_i32 s6, 0x2000
	v_add_co_u32_e32 v20, vcc, s6, v2
	v_or_b32_e32 v28, 0x2400, v63
	v_addc_co_u32_e32 v21, vcc, 0, v3, vcc
	global_load_dwordx2 v[4:5], v[2:3], off offset:2304
	global_load_dwordx2 v[8:9], v[2:3], off offset:3072
	;; [unrolled: 1-line block ×7, first 2 shown]
	global_load_dwordx2 v[24:25], v[16:17], off
	global_load_dwordx2 v[26:27], v[6:7], off offset:3584
	v_add_co_u32_e32 v6, vcc, v1, v28
	v_addc_co_u32_e32 v7, vcc, 0, v0, vcc
	v_or_b32_e32 v32, 0x3000, v63
	v_add_co_u32_e32 v32, vcc, v1, v32
	s_movk_i32 s6, 0x3000
	v_addc_co_u32_e32 v33, vcc, 0, v0, vcc
	v_add_co_u32_e32 v34, vcc, s6, v2
	global_load_dwordx2 v[16:17], v[2:3], off
	global_load_dwordx2 v[28:29], v[2:3], off offset:1536
	global_load_dwordx2 v[30:31], v[2:3], off offset:768
	v_addc_co_u32_e32 v35, vcc, 0, v3, vcc
	global_load_dwordx2 v[36:37], v[20:21], off offset:1792
	global_load_dwordx2 v[38:39], v[20:21], off offset:2560
	global_load_dwordx2 v[40:41], v[6:7], off
	global_load_dwordx2 v[42:43], v[20:21], off offset:3328
	global_load_dwordx2 v[44:45], v[32:33], off
	global_load_dwordx2 v[46:47], v[34:35], off offset:768
	global_load_dwordx2 v[48:49], v[34:35], off offset:1536
	;; [unrolled: 1-line block ×3, first 2 shown]
	v_or_b32_e32 v6, 0x3c00, v63
	v_add_co_u32_e32 v6, vcc, v1, v6
	v_addc_co_u32_e32 v7, vcc, 0, v0, vcc
	s_movk_i32 s6, 0x4000
	v_add_co_u32_e32 v20, vcc, s6, v2
	v_addc_co_u32_e32 v21, vcc, 0, v3, vcc
	global_load_dwordx2 v[32:33], v[20:21], off offset:1280
	global_load_dwordx2 v[52:53], v[20:21], off offset:512
	global_load_dwordx2 v[54:55], v[6:7], off
	global_load_dwordx2 v[56:57], v[34:35], off offset:3840
	v_or_b32_e32 v6, 0x4800, v63
	v_add_co_u32_e32 v6, vcc, v1, v6
	v_addc_co_u32_e32 v7, vcc, 0, v0, vcc
	s_movk_i32 s6, 0x5000
	v_add_co_u32_e32 v2, vcc, s6, v2
	v_addc_co_u32_e32 v3, vcc, 0, v3, vcc
	global_load_dwordx2 v[34:35], v[20:21], off offset:2816
	global_load_dwordx2 v[58:59], v[2:3], off offset:256
	global_load_dwordx2 v[66:67], v[6:7], off
	global_load_dwordx2 v[68:69], v[20:21], off offset:3584
	v_or_b32_e32 v6, 0x5400, v63
	v_add_co_u32_e32 v6, vcc, v1, v6
	v_addc_co_u32_e32 v7, vcc, 0, v0, vcc
	global_load_dwordx2 v[20:21], v[6:7], off
	global_load_dwordx2 v[70:71], v[2:3], off offset:1792
	v_add_u32_e32 v2, 0, v63
	v_add_u32_e32 v3, 0x400, v2
	v_mov_b32_e32 v63, 0
	s_movk_i32 s6, 0x5f
	v_cmp_eq_u32_e32 vcc, s6, v62
	s_waitcnt vmcnt(19)
	ds_write2_b64 v3, v[28:29], v[4:5] offset0:64 offset1:160
	v_add_u32_e32 v3, 0x800, v2
	v_add_u32_e32 v4, 0x1000, v2
	ds_write2_b64 v3, v[8:9], v[10:11] offset0:128 offset1:224
	ds_write2_b64 v4, v[12:13], v[14:15] offset0:64 offset1:160
	v_add_u32_e32 v3, 0x1800, v2
	ds_write2_b64 v3, v[24:25], v[18:19] offset1:96
	v_add_u32_e32 v3, 0x1c00, v2
	v_add_u32_e32 v4, 0x2000, v2
	ds_write2_b64 v3, v[26:27], v[22:23] offset0:64 offset1:160
	s_waitcnt vmcnt(15)
	ds_write2_b64 v4, v[40:41], v[36:37] offset0:128 offset1:224
	ds_write2_b64 v2, v[16:17], v[30:31] offset1:96
	v_add_u32_e32 v3, 0x2800, v2
	v_add_u32_e32 v4, 0x3000, v2
	;; [unrolled: 1-line block ×3, first 2 shown]
	s_waitcnt vmcnt(14)
	ds_write2_b64 v3, v[38:39], v[42:43] offset0:64 offset1:160
	s_waitcnt vmcnt(12)
	ds_write2_b64 v4, v[44:45], v[46:47] offset1:96
	s_waitcnt vmcnt(10)
	ds_write2_b64 v5, v[48:49], v[50:51] offset0:64 offset1:160
	v_add_u32_e32 v3, 0x3800, v2
	s_waitcnt vmcnt(6)
	ds_write2_b64 v3, v[54:55], v[56:57] offset0:128 offset1:224
	v_add_u32_e32 v3, 0x4000, v2
	ds_write2_b64 v3, v[52:53], v[32:33] offset0:64 offset1:160
	v_add_u32_e32 v3, 0x4800, v2
	s_waitcnt vmcnt(3)
	ds_write2_b64 v3, v[66:67], v[34:35] offset1:96
	v_add_u32_e32 v3, 0x4c00, v2
	s_waitcnt vmcnt(2)
	ds_write2_b64 v3, v[68:69], v[58:59] offset0:64 offset1:160
	v_mov_b32_e32 v3, v62
	v_add_u32_e32 v2, 0x5000, v2
	v_mov_b32_e32 v4, v63
	s_waitcnt vmcnt(0)
	ds_write2_b64 v2, v[20:21], v[70:71] offset0:128 offset1:224
	s_and_saveexec_b64 s[6:7], vcc
	s_cbranch_execz .LBB0_14
; %bb.13:
	v_add_co_u32_e32 v1, vcc, 0x5000, v1
	v_addc_co_u32_e32 v2, vcc, 0, v0, vcc
	global_load_dwordx2 v[0:1], v[1:2], off offset:2560
	v_mov_b32_e32 v3, 0x5f
	v_mov_b32_e32 v4, 0
	;; [unrolled: 1-line block ×3, first 2 shown]
	s_waitcnt vmcnt(0)
	ds_write_b64 v63, v[0:1] offset:23040
.LBB0_14:
	s_or_b64 exec, exec, s[6:7]
.LBB0_15:
	s_or_b64 exec, exec, s[4:5]
	v_lshlrev_b32_e32 v0, 3, v62
	v_add_u32_e32 v77, 0, v0
	s_waitcnt lgkmcnt(0)
	s_barrier
	v_sub_u32_e32 v5, 0, v0
	ds_read_b32 v0, v77
	ds_read_b32 v1, v5 offset:23040
	s_add_u32 s6, s12, 0x59b0
	v_lshlrev_b64 v[70:71], 3, v[3:4]
	s_addc_u32 s7, s13, 0
	v_cmp_ne_u32_e32 vcc, 0, v62
	s_waitcnt lgkmcnt(0)
	v_add_f32_e32 v2, v1, v0
	v_sub_f32_e32 v3, v0, v1
	s_and_saveexec_b64 s[4:5], vcc
	s_xor_b64 s[4:5], exec, s[4:5]
	s_cbranch_execz .LBB0_17
; %bb.16:
	v_mov_b32_e32 v3, s7
	v_add_co_u32_e32 v2, vcc, s6, v70
	v_addc_co_u32_e32 v3, vcc, v3, v71, vcc
	global_load_dwordx2 v[6:7], v[2:3], off
	ds_read_b32 v2, v5 offset:23044
	ds_read_b32 v3, v77 offset:4
	v_add_f32_e32 v4, v1, v0
	v_sub_f32_e32 v8, v0, v1
	s_waitcnt lgkmcnt(0)
	v_add_f32_e32 v9, v2, v3
	v_sub_f32_e32 v1, v3, v2
	s_waitcnt vmcnt(0)
	v_fma_f32 v3, v9, v7, v1
	v_fma_f32 v0, -v8, v7, v4
	v_fma_f32 v1, v9, v7, -v1
	v_fma_f32 v2, v8, v7, v4
	v_fmac_f32_e32 v0, v6, v9
	v_fmac_f32_e32 v1, v8, v6
	v_fma_f32 v2, -v6, v9, v2
	v_fmac_f32_e32 v3, v8, v6
	ds_write_b64 v5, v[0:1] offset:23040
.LBB0_17:
	s_andn2_saveexec_b64 s[4:5], s[4:5]
	s_cbranch_execz .LBB0_19
; %bb.18:
	v_mov_b32_e32 v4, 0
	ds_read_b64 v[0:1], v4 offset:11520
	s_waitcnt lgkmcnt(0)
	v_add_f32_e32 v0, v0, v0
	v_mul_f32_e32 v1, -2.0, v1
	ds_write_b64 v4, v[0:1] offset:11520
.LBB0_19:
	s_or_b64 exec, exec, s[4:5]
	v_mov_b32_e32 v63, 0
	v_lshlrev_b64 v[72:73], 3, v[62:63]
	v_mov_b32_e32 v1, s7
	v_add_co_u32_e32 v0, vcc, s6, v72
	v_addc_co_u32_e32 v1, vcc, v1, v73, vcc
	global_load_dwordx2 v[6:7], v[0:1], off offset:768
	global_load_dwordx2 v[8:9], v[0:1], off offset:1536
	;; [unrolled: 1-line block ×4, first 2 shown]
	ds_write_b64 v77, v[2:3]
	ds_read_b64 v[2:3], v77 offset:768
	ds_read_b64 v[14:15], v5 offset:22272
	global_load_dwordx2 v[16:17], v[0:1], off offset:3840
	s_movk_i32 s5, 0x1000
	v_or_b32_e32 v74, 0x300, v62
	v_mov_b32_e32 v75, v63
	s_waitcnt lgkmcnt(0)
	v_add_f32_e32 v4, v2, v14
	v_add_f32_e32 v18, v15, v3
	v_sub_f32_e32 v19, v2, v14
	v_sub_f32_e32 v2, v3, v15
	v_lshlrev_b64 v[66:67], 3, v[74:75]
	s_movk_i32 s4, 0x2000
	v_or_b32_e32 v75, 0x480, v62
	v_mov_b32_e32 v76, v63
	v_lshlrev_b64 v[68:69], 3, v[75:76]
	v_add_u32_e32 v79, 0x1000, v77
	v_add_u32_e32 v76, 0x2000, v77
	;; [unrolled: 1-line block ×9, first 2 shown]
	v_mul_u32_u24_e32 v119, 10, v62
	v_lshl_add_u32 v119, v119, 3, 0
	v_add_u32_e32 v90, 0x400, v77
	v_add_u32_e32 v88, 0x1800, v77
	;; [unrolled: 1-line block ×5, first 2 shown]
	s_mov_b32 s9, 0x3f167918
	s_mov_b32 s8, 0xbf167918
	v_add_u32_e32 v120, 0x1e00, v119
	s_waitcnt vmcnt(4)
	v_fma_f32 v20, v19, v7, v4
	v_fma_f32 v3, v18, v7, v2
	v_fma_f32 v14, -v19, v7, v4
	v_fma_f32 v15, v18, v7, -v2
	v_fma_f32 v2, -v6, v18, v20
	v_fmac_f32_e32 v3, v19, v6
	v_fmac_f32_e32 v14, v6, v18
	;; [unrolled: 1-line block ×3, first 2 shown]
	ds_write_b64 v77, v[2:3] offset:768
	ds_write_b64 v5, v[14:15] offset:22272
	v_add_co_u32_e32 v14, vcc, s5, v0
	v_addc_co_u32_e32 v15, vcc, 0, v1, vcc
	ds_read_b64 v[2:3], v77 offset:1536
	ds_read_b64 v[6:7], v5 offset:21504
	global_load_dwordx2 v[18:19], v[14:15], off offset:512
	s_waitcnt lgkmcnt(0)
	v_add_f32_e32 v4, v2, v6
	v_add_f32_e32 v20, v7, v3
	v_sub_f32_e32 v21, v2, v6
	v_sub_f32_e32 v2, v3, v7
	s_waitcnt vmcnt(4)
	v_fma_f32 v22, v21, v9, v4
	v_fma_f32 v3, v20, v9, v2
	v_fma_f32 v6, -v21, v9, v4
	v_fma_f32 v7, v20, v9, -v2
	v_fma_f32 v2, -v8, v20, v22
	v_fmac_f32_e32 v3, v21, v8
	v_fmac_f32_e32 v6, v8, v20
	;; [unrolled: 1-line block ×3, first 2 shown]
	ds_write_b64 v77, v[2:3] offset:1536
	ds_write_b64 v5, v[6:7] offset:21504
	ds_read_b64 v[2:3], v77 offset:2304
	ds_read_b64 v[6:7], v5 offset:20736
	global_load_dwordx2 v[8:9], v[14:15], off offset:1280
	v_mov_b32_e32 v4, s7
	s_waitcnt lgkmcnt(0)
	v_add_f32_e32 v20, v2, v6
	v_add_f32_e32 v21, v7, v3
	v_sub_f32_e32 v22, v2, v6
	v_sub_f32_e32 v2, v3, v7
	s_waitcnt vmcnt(4)
	v_fma_f32 v23, v22, v11, v20
	v_fma_f32 v3, v21, v11, v2
	v_fma_f32 v6, -v22, v11, v20
	v_fma_f32 v7, v21, v11, -v2
	v_fma_f32 v2, -v10, v21, v23
	v_fmac_f32_e32 v3, v22, v10
	v_fmac_f32_e32 v6, v10, v21
	;; [unrolled: 1-line block ×3, first 2 shown]
	v_add_co_u32_e32 v10, vcc, s6, v66
	ds_write_b64 v77, v[2:3] offset:2304
	ds_write_b64 v5, v[6:7] offset:20736
	v_addc_co_u32_e32 v11, vcc, v4, v67, vcc
	ds_read_b64 v[2:3], v77 offset:3072
	ds_read_b64 v[6:7], v5 offset:19968
	global_load_dwordx2 v[10:11], v[10:11], off
	v_add_co_u32_e32 v0, vcc, s4, v0
	v_addc_co_u32_e32 v1, vcc, 0, v1, vcc
	s_waitcnt lgkmcnt(0)
	v_add_f32_e32 v4, v2, v6
	v_add_f32_e32 v20, v7, v3
	v_sub_f32_e32 v21, v2, v6
	v_sub_f32_e32 v2, v3, v7
	s_waitcnt vmcnt(4)
	v_fma_f32 v22, v21, v13, v4
	v_fma_f32 v3, v20, v13, v2
	v_fma_f32 v6, -v21, v13, v4
	v_fma_f32 v7, v20, v13, -v2
	v_fma_f32 v2, -v12, v20, v22
	v_fmac_f32_e32 v3, v21, v12
	v_fmac_f32_e32 v6, v12, v20
	;; [unrolled: 1-line block ×3, first 2 shown]
	ds_write_b64 v77, v[2:3] offset:3072
	ds_write_b64 v5, v[6:7] offset:19968
	ds_read_b64 v[2:3], v77 offset:3840
	ds_read_b64 v[6:7], v5 offset:19200
	global_load_dwordx2 v[12:13], v[14:15], off offset:2816
	s_waitcnt lgkmcnt(0)
	v_add_f32_e32 v4, v2, v6
	v_add_f32_e32 v20, v7, v3
	v_sub_f32_e32 v21, v2, v6
	v_sub_f32_e32 v2, v3, v7
	s_waitcnt vmcnt(4)
	v_fma_f32 v22, v21, v17, v4
	v_fma_f32 v3, v20, v17, v2
	v_fma_f32 v6, -v21, v17, v4
	v_fma_f32 v7, v20, v17, -v2
	v_fma_f32 v2, -v16, v20, v22
	v_fmac_f32_e32 v3, v21, v16
	v_fmac_f32_e32 v6, v16, v20
	;; [unrolled: 1-line block ×3, first 2 shown]
	ds_write_b64 v77, v[2:3] offset:3840
	ds_write_b64 v5, v[6:7] offset:19200
	ds_read_b64 v[2:3], v77 offset:4608
	ds_read_b64 v[6:7], v5 offset:18432
	s_waitcnt lgkmcnt(0)
	v_add_f32_e32 v4, v2, v6
	v_add_f32_e32 v16, v7, v3
	v_sub_f32_e32 v17, v2, v6
	v_sub_f32_e32 v2, v3, v7
	s_waitcnt vmcnt(3)
	v_fma_f32 v20, v17, v19, v4
	v_fma_f32 v3, v16, v19, v2
	v_fma_f32 v6, -v17, v19, v4
	v_fma_f32 v7, v16, v19, -v2
	v_fma_f32 v2, -v18, v16, v20
	v_fmac_f32_e32 v3, v17, v18
	v_fmac_f32_e32 v6, v18, v16
	;; [unrolled: 1-line block ×3, first 2 shown]
	ds_write_b64 v77, v[2:3] offset:4608
	ds_write_b64 v5, v[6:7] offset:18432
	global_load_dwordx2 v[2:3], v[0:1], off offset:256
	global_load_dwordx2 v[6:7], v[0:1], off offset:1792
	global_load_dwordx2 v[16:17], v[14:15], off offset:3584
	ds_read_b64 v[14:15], v77 offset:5376
	ds_read_b64 v[18:19], v5 offset:17664
	s_waitcnt lgkmcnt(0)
	v_add_f32_e32 v4, v14, v18
	v_add_f32_e32 v20, v19, v15
	v_sub_f32_e32 v21, v14, v18
	v_sub_f32_e32 v18, v15, v19
	s_waitcnt vmcnt(5)
	v_fma_f32 v22, v21, v9, v4
	v_fma_f32 v19, v20, v9, v18
	v_fma_f32 v14, -v21, v9, v4
	v_fma_f32 v15, v20, v9, -v18
	v_fma_f32 v18, -v8, v20, v22
	v_fmac_f32_e32 v19, v21, v8
	v_fmac_f32_e32 v14, v8, v20
	;; [unrolled: 1-line block ×3, first 2 shown]
	ds_write_b64 v77, v[18:19] offset:5376
	ds_write_b64 v5, v[14:15] offset:17664
	ds_read_b64 v[8:9], v77 offset:6144
	ds_read_b64 v[14:15], v5 offset:16896
	s_waitcnt lgkmcnt(0)
	v_add_f32_e32 v4, v8, v14
	v_add_f32_e32 v18, v15, v9
	v_sub_f32_e32 v19, v8, v14
	v_sub_f32_e32 v20, v9, v15
	v_mov_b32_e32 v9, s7
	v_add_co_u32_e32 v14, vcc, s6, v68
	v_addc_co_u32_e32 v15, vcc, v9, v69, vcc
	global_load_dwordx2 v[14:15], v[14:15], off
	s_waitcnt vmcnt(5)
	v_fma_f32 v8, v19, v11, v4
	v_fma_f32 v9, v18, v11, v20
	v_fma_f32 v8, -v10, v18, v8
	v_fmac_f32_e32 v9, v19, v10
	ds_write_b64 v77, v[8:9] offset:6144
	v_fma_f32 v8, -v19, v11, v4
	v_fma_f32 v9, v18, v11, -v20
	v_fmac_f32_e32 v8, v10, v18
	v_fmac_f32_e32 v9, v19, v10
	ds_write_b64 v5, v[8:9] offset:16896
	ds_read_b64 v[8:9], v77 offset:6912
	ds_read_b64 v[10:11], v5 offset:16128
	s_mov_b32 s7, 0x3f737871
	s_mov_b32 s6, 0xbf737871
	v_cmp_gt_u32_e32 vcc, 60, v62
	s_waitcnt lgkmcnt(0)
	v_add_f32_e32 v4, v8, v10
	v_add_f32_e32 v18, v11, v9
	v_sub_f32_e32 v10, v8, v10
	v_sub_f32_e32 v11, v9, v11
	s_waitcnt vmcnt(4)
	v_fma_f32 v8, v10, v13, v4
	v_fma_f32 v9, v18, v13, v11
	v_fma_f32 v8, -v12, v18, v8
	v_fmac_f32_e32 v9, v10, v12
	ds_write_b64 v77, v[8:9] offset:6912
	v_fma_f32 v8, -v10, v13, v4
	v_fma_f32 v9, v18, v13, -v11
	v_fmac_f32_e32 v8, v12, v18
	v_fmac_f32_e32 v9, v10, v12
	ds_write_b64 v5, v[8:9] offset:16128
	ds_read_b64 v[8:9], v77 offset:7680
	ds_read_b64 v[10:11], v5 offset:15360
	global_load_dwordx2 v[0:1], v[0:1], off offset:2560
	s_waitcnt lgkmcnt(0)
	v_add_f32_e32 v4, v8, v10
	v_add_f32_e32 v12, v11, v9
	v_sub_f32_e32 v10, v8, v10
	v_sub_f32_e32 v11, v9, v11
	s_waitcnt vmcnt(2)
	v_fma_f32 v8, v10, v17, v4
	v_fma_f32 v9, v12, v17, v11
	v_fma_f32 v8, -v16, v12, v8
	v_fmac_f32_e32 v9, v10, v16
	ds_write_b64 v77, v[8:9] offset:7680
	v_fma_f32 v8, -v10, v17, v4
	v_fma_f32 v9, v12, v17, -v11
	v_fmac_f32_e32 v8, v16, v12
	v_fmac_f32_e32 v9, v10, v16
	ds_write_b64 v5, v[8:9] offset:15360
	ds_read_b64 v[8:9], v77 offset:8448
	ds_read_b64 v[10:11], v5 offset:14592
	s_waitcnt lgkmcnt(0)
	v_add_f32_e32 v4, v8, v10
	v_add_f32_e32 v12, v11, v9
	v_sub_f32_e32 v10, v8, v10
	v_sub_f32_e32 v11, v9, v11
	v_fma_f32 v8, v10, v3, v4
	v_fma_f32 v9, v12, v3, v11
	v_fma_f32 v8, -v2, v12, v8
	v_fmac_f32_e32 v9, v10, v2
	ds_write_b64 v77, v[8:9] offset:8448
	v_fma_f32 v8, -v10, v3, v4
	v_fma_f32 v9, v12, v3, -v11
	v_fmac_f32_e32 v8, v2, v12
	v_fmac_f32_e32 v9, v10, v2
	ds_write_b64 v5, v[8:9] offset:14592
	ds_read_b64 v[2:3], v77 offset:9216
	ds_read_b64 v[8:9], v5 offset:13824
	s_waitcnt lgkmcnt(0)
	v_add_f32_e32 v4, v2, v8
	v_add_f32_e32 v10, v9, v3
	v_sub_f32_e32 v8, v2, v8
	v_sub_f32_e32 v9, v3, v9
	s_waitcnt vmcnt(1)
	v_fma_f32 v2, v8, v15, v4
	v_fma_f32 v3, v10, v15, v9
	v_fma_f32 v2, -v14, v10, v2
	v_fmac_f32_e32 v3, v8, v14
	ds_write_b64 v77, v[2:3] offset:9216
	v_fma_f32 v2, -v8, v15, v4
	v_fma_f32 v3, v10, v15, -v9
	v_fmac_f32_e32 v2, v14, v10
	v_fmac_f32_e32 v3, v8, v14
	ds_write_b64 v5, v[2:3] offset:13824
	ds_read_b64 v[2:3], v77 offset:9984
	ds_read_b64 v[8:9], v5 offset:13056
	s_waitcnt lgkmcnt(0)
	v_add_f32_e32 v4, v2, v8
	v_add_f32_e32 v10, v9, v3
	v_sub_f32_e32 v8, v2, v8
	v_sub_f32_e32 v9, v3, v9
	v_fma_f32 v2, v8, v7, v4
	v_fma_f32 v3, v10, v7, v9
	v_fma_f32 v2, -v6, v10, v2
	v_fmac_f32_e32 v3, v8, v6
	ds_write_b64 v77, v[2:3] offset:9984
	v_fma_f32 v2, -v8, v7, v4
	v_fma_f32 v3, v10, v7, -v9
	v_fmac_f32_e32 v2, v6, v10
	v_fmac_f32_e32 v3, v8, v6
	ds_write_b64 v5, v[2:3] offset:13056
	ds_read_b64 v[2:3], v77 offset:10752
	ds_read_b64 v[6:7], v5 offset:12288
	s_waitcnt lgkmcnt(0)
	v_add_f32_e32 v4, v2, v6
	v_add_f32_e32 v8, v7, v3
	v_sub_f32_e32 v6, v2, v6
	v_sub_f32_e32 v7, v3, v7
	s_waitcnt vmcnt(0)
	v_fma_f32 v2, v6, v1, v4
	v_fma_f32 v3, v8, v1, v7
	v_fma_f32 v2, -v0, v8, v2
	v_fmac_f32_e32 v3, v6, v0
	ds_write_b64 v77, v[2:3] offset:10752
	v_fma_f32 v2, -v6, v1, v4
	v_fma_f32 v3, v8, v1, -v7
	v_fmac_f32_e32 v2, v0, v8
	v_fmac_f32_e32 v3, v6, v0
	ds_write_b64 v5, v[2:3] offset:12288
	s_waitcnt lgkmcnt(0)
	s_barrier
	s_barrier
	ds_read2_b64 v[0:3], v79 offset0:64 offset1:160
	ds_read2_b64 v[4:7], v76 offset0:128 offset1:224
	;; [unrolled: 1-line block ×3, first 2 shown]
	ds_read2_b64 v[8:11], v78 offset1:96
	ds_read2_b64 v[36:39], v82 offset0:64 offset1:160
	ds_read2_b64 v[44:47], v84 offset1:96
	ds_read2_b64 v[56:59], v83 offset0:64 offset1:160
	ds_read2_b64 v[52:55], v81 offset0:128 offset1:224
	;; [unrolled: 1-line block ×3, first 2 shown]
	ds_read2_b64 v[20:23], v77 offset1:96
	s_waitcnt lgkmcnt(8)
	v_sub_f32_e32 v16, v2, v6
	s_waitcnt lgkmcnt(6)
	v_sub_f32_e32 v17, v10, v14
	v_add_f32_e32 v91, v16, v17
	v_sub_f32_e32 v16, v3, v7
	v_sub_f32_e32 v17, v11, v15
	v_add_f32_e32 v96, v16, v17
	s_waitcnt lgkmcnt(4)
	v_sub_f32_e32 v16, v36, v44
	s_waitcnt lgkmcnt(2)
	v_sub_f32_e32 v17, v52, v56
	v_add_f32_e32 v97, v16, v17
	v_sub_f32_e32 v16, v37, v45
	v_sub_f32_e32 v17, v53, v57
	v_add_f32_e32 v98, v16, v17
	v_add_f32_e32 v16, v44, v56
	s_waitcnt lgkmcnt(1)
	v_fma_f32 v99, -0.5, v16, v48
	v_sub_f32_e32 v100, v37, v53
	v_mov_b32_e32 v16, v99
	v_fmac_f32_e32 v16, 0x3f737871, v100
	v_sub_f32_e32 v101, v45, v57
	v_fmac_f32_e32 v16, 0x3f167918, v101
	v_fmac_f32_e32 v16, 0x3e9e377a, v97
	v_mul_f32_e32 v105, 0x3f4f1bbd, v16
	v_mul_f32_e32 v106, 0xbf167918, v16
	s_waitcnt lgkmcnt(0)
	v_add_f32_e32 v16, v22, v2
	v_add_f32_e32 v16, v16, v6
	;; [unrolled: 1-line block ×5, first 2 shown]
	v_fma_f32 v108, -0.5, v16, v22
	v_add_f32_e32 v16, v23, v3
	v_add_f32_e32 v16, v16, v7
	;; [unrolled: 1-line block ×3, first 2 shown]
	v_sub_f32_e32 v114, v2, v10
	v_sub_f32_e32 v116, v6, v14
	;; [unrolled: 1-line block ×3, first 2 shown]
	v_add_f32_e32 v2, v2, v10
	v_add_f32_e32 v112, v16, v11
	;; [unrolled: 1-line block ×3, first 2 shown]
	v_sub_f32_e32 v14, v14, v10
	v_fma_f32 v10, -0.5, v2, v22
	v_add_f32_e32 v2, v3, v11
	v_fma_f32 v113, -0.5, v16, v23
	v_fmac_f32_e32 v23, -0.5, v2
	v_sub_f32_e32 v109, v3, v11
	v_sub_f32_e32 v2, v7, v3
	;; [unrolled: 1-line block ×3, first 2 shown]
	v_mov_b32_e32 v11, v23
	v_fmac_f32_e32 v11, 0x3f737871, v116
	v_fmac_f32_e32 v23, 0xbf737871, v116
	v_add_f32_e32 v2, v2, v3
	v_fmac_f32_e32 v11, 0xbf167918, v114
	v_fmac_f32_e32 v23, 0x3f167918, v114
	v_sub_f32_e32 v111, v7, v15
	v_add_f32_e32 v6, v6, v14
	v_mov_b32_e32 v14, v10
	v_fmac_f32_e32 v11, 0x3e9e377a, v2
	v_fmac_f32_e32 v23, 0x3e9e377a, v2
	v_sub_f32_e32 v2, v44, v36
	v_sub_f32_e32 v3, v56, v52
	v_fmac_f32_e32 v14, 0xbf737871, v111
	v_fmac_f32_e32 v10, 0x3f737871, v111
	v_add_f32_e32 v2, v2, v3
	v_add_f32_e32 v3, v36, v52
	v_fmac_f32_e32 v14, 0x3f167918, v109
	v_fmac_f32_e32 v10, 0xbf167918, v109
	v_fma_f32 v3, -0.5, v3, v48
	v_fmac_f32_e32 v14, 0x3e9e377a, v6
	v_fmac_f32_e32 v10, 0x3e9e377a, v6
	v_mov_b32_e32 v6, v3
	v_fmac_f32_e32 v6, 0xbf737871, v101
	v_fmac_f32_e32 v3, 0x3f737871, v101
	;; [unrolled: 1-line block ×6, first 2 shown]
	v_sub_f32_e32 v2, v45, v37
	v_sub_f32_e32 v7, v57, v53
	v_add_f32_e32 v2, v2, v7
	v_add_f32_e32 v7, v37, v53
	v_fma_f32 v7, -0.5, v7, v49
	v_sub_f32_e32 v104, v44, v56
	v_mov_b32_e32 v15, v7
	v_add_f32_e32 v17, v45, v57
	v_sub_f32_e32 v103, v36, v52
	v_add_f32_e32 v16, v48, v36
	v_fmac_f32_e32 v15, 0x3f737871, v104
	v_fmac_f32_e32 v7, 0xbf737871, v104
	v_fma_f32 v102, -0.5, v17, v49
	v_add_f32_e32 v16, v16, v44
	v_fmac_f32_e32 v15, 0xbf167918, v103
	v_fmac_f32_e32 v7, 0x3f167918, v103
	v_mov_b32_e32 v17, v102
	v_add_f32_e32 v16, v16, v56
	v_fmac_f32_e32 v15, 0x3e9e377a, v2
	v_fmac_f32_e32 v7, 0x3e9e377a, v2
	v_mul_f32_e32 v36, 0xbf737871, v6
	v_mul_f32_e32 v2, 0x3e9e377a, v3
	v_fmac_f32_e32 v17, 0xbf737871, v103
	v_add_f32_e32 v117, v16, v52
	v_add_f32_e32 v16, v49, v37
	v_mul_f32_e32 v22, 0x3f737871, v15
	v_fmac_f32_e32 v36, 0x3e9e377a, v15
	v_fma_f32 v15, v7, s7, -v2
	v_mul_f32_e32 v2, 0x3e9e377a, v7
	v_fmac_f32_e32 v99, 0xbf737871, v100
	v_fmac_f32_e32 v17, 0xbf167918, v104
	v_add_f32_e32 v16, v16, v45
	v_fmac_f32_e32 v22, 0x3e9e377a, v6
	v_fma_f32 v37, v3, s6, -v2
	v_fmac_f32_e32 v99, 0xbf167918, v101
	v_fmac_f32_e32 v102, 0x3f737871, v103
	;; [unrolled: 1-line block ×3, first 2 shown]
	v_add_f32_e32 v16, v16, v57
	v_add_f32_e32 v2, v14, v22
	v_add_f32_e32 v3, v11, v36
	v_add_f32_e32 v6, v10, v15
	v_add_f32_e32 v7, v23, v37
	v_add_u32_e32 v44, 0x1e10, v119
	v_fmac_f32_e32 v99, 0x3e9e377a, v97
	v_fmac_f32_e32 v102, 0x3f167918, v104
	;; [unrolled: 1-line block ×4, first 2 shown]
	v_mov_b32_e32 v110, v108
	v_mov_b32_e32 v115, v113
	v_add_f32_e32 v118, v16, v53
	ds_read2_b64 v[16:19], v90 offset0:64 offset1:160
	ds_read2_b64 v[32:35], v88 offset1:96
	ds_read2_b64 v[40:43], v86 offset0:64 offset1:160
	ds_read2_b64 v[28:31], v89 offset0:128 offset1:224
	;; [unrolled: 1-line block ×3, first 2 shown]
	s_waitcnt lgkmcnt(0)
	s_barrier
	ds_write2_b64 v44, v[2:3], v[6:7] offset1:1
	v_fmac_f32_e32 v108, 0xbf737871, v109
	v_fmac_f32_e32 v113, 0x3f737871, v114
	v_fmac_f32_e32 v102, 0x3e9e377a, v98
	v_mul_f32_e32 v6, 0x3f4f1bbd, v99
	v_fmac_f32_e32 v110, 0x3f737871, v109
	v_fmac_f32_e32 v115, 0xbf737871, v114
	;; [unrolled: 1-line block ×4, first 2 shown]
	v_fma_f32 v44, v102, s9, -v6
	v_mul_f32_e32 v6, 0x3f4f1bbd, v102
	v_fmac_f32_e32 v110, 0x3f167918, v111
	v_fmac_f32_e32 v115, 0xbf167918, v116
	;; [unrolled: 1-line block ×4, first 2 shown]
	v_fma_f32 v45, v99, s8, -v6
	v_fmac_f32_e32 v110, 0x3e9e377a, v91
	v_fmac_f32_e32 v115, 0x3e9e377a, v96
	v_sub_f32_e32 v2, v107, v117
	v_sub_f32_e32 v3, v112, v118
	v_add_f32_e32 v6, v108, v44
	v_add_f32_e32 v7, v113, v45
	v_add_u32_e32 v48, 0x1e20, v119
	ds_write2_b64 v48, v[6:7], v[2:3] offset1:1
	v_sub_f32_e32 v2, v110, v105
	v_sub_f32_e32 v3, v115, v106
	;; [unrolled: 1-line block ×4, first 2 shown]
	v_add_u32_e32 v11, 0x1e30, v119
	ds_write2_b64 v11, v[2:3], v[6:7] offset1:1
	v_sub_f32_e32 v2, v108, v44
	v_sub_f32_e32 v3, v113, v45
	;; [unrolled: 1-line block ×4, first 2 shown]
	v_add_u32_e32 v10, 0x1e40, v119
	ds_write2_b64 v10, v[6:7], v[2:3] offset1:1
	v_add_f32_e32 v2, v50, v38
	v_add_f32_e32 v3, v51, v39
	;; [unrolled: 1-line block ×7, first 2 shown]
	v_sub_f32_e32 v7, v38, v46
	v_sub_f32_e32 v11, v46, v38
	;; [unrolled: 1-line block ×5, first 2 shown]
	v_add_f32_e32 v48, v2, v54
	v_add_f32_e32 v49, v3, v55
	v_sub_f32_e32 v2, v32, v40
	v_sub_f32_e32 v3, v24, v28
	v_add_f32_e32 v52, v2, v3
	v_sub_f32_e32 v2, v33, v41
	v_sub_f32_e32 v3, v25, v29
	v_add_f32_e32 v22, v22, v46
	v_fma_f32 v46, -0.5, v6, v50
	v_sub_f32_e32 v36, v39, v55
	v_add_f32_e32 v53, v2, v3
	v_mov_b32_e32 v2, v46
	v_sub_f32_e32 v10, v47, v59
	v_sub_f32_e32 v44, v54, v58
	v_fmac_f32_e32 v2, 0x3f737871, v36
	v_add_f32_e32 v44, v7, v44
	v_fmac_f32_e32 v2, 0x3f167918, v10
	v_fmac_f32_e32 v2, 0x3e9e377a, v44
	v_add_f32_e32 v14, v47, v59
	v_sub_f32_e32 v23, v47, v39
	v_add_f32_e32 v37, v38, v54
	v_sub_f32_e32 v38, v38, v54
	;; [unrolled: 2-line block ×3, first 2 shown]
	v_sub_f32_e32 v47, v59, v55
	v_mul_f32_e32 v54, 0x3f4f1bbd, v2
	v_mul_f32_e32 v55, 0xbf167918, v2
	v_add_f32_e32 v2, v16, v32
	v_add_f32_e32 v2, v2, v40
	;; [unrolled: 1-line block ×5, first 2 shown]
	v_fma_f32 v57, -0.5, v2, v16
	v_add_f32_e32 v2, v17, v33
	v_add_f32_e32 v2, v2, v41
	;; [unrolled: 1-line block ×7, first 2 shown]
	ds_write2_b64 v120, v[92:93], v[94:95] offset1:1
	v_fma_f32 v14, -0.5, v14, v51
	v_add_f32_e32 v92, v2, v25
	v_add_f32_e32 v2, v41, v29
	v_mov_b32_e32 v3, v14
	v_fma_f32 v93, -0.5, v2, v17
	v_fmac_f32_e32 v3, 0xbf737871, v38
	v_sub_f32_e32 v58, v33, v25
	v_mov_b32_e32 v59, v57
	v_sub_f32_e32 v94, v32, v24
	v_mov_b32_e32 v95, v93
	v_sub_f32_e32 v96, v40, v28
	v_sub_f32_e32 v28, v28, v24
	v_add_f32_e32 v24, v32, v24
	v_fmac_f32_e32 v3, 0xbf167918, v15
	v_fmac_f32_e32 v59, 0x3f737871, v58
	v_sub_f32_e32 v91, v41, v29
	v_fmac_f32_e32 v95, 0xbf737871, v94
	v_fma_f32 v16, -0.5, v24, v16
	v_fmac_f32_e32 v3, 0x3e9e377a, v22
	v_fmac_f32_e32 v59, 0x3f167918, v91
	;; [unrolled: 1-line block ×3, first 2 shown]
	v_mov_b32_e32 v24, v16
	v_fmac_f32_e32 v54, 0x3f167918, v3
	v_fmac_f32_e32 v55, 0x3f4f1bbd, v3
	;; [unrolled: 1-line block ×4, first 2 shown]
	v_fmac_f32_e32 v51, -0.5, v39
	v_sub_f32_e32 v39, v40, v32
	v_fmac_f32_e32 v24, 0xbf737871, v91
	v_fmac_f32_e32 v16, 0x3f737871, v91
	v_add_f32_e32 v2, v56, v48
	v_add_f32_e32 v3, v92, v49
	;; [unrolled: 1-line block ×4, first 2 shown]
	v_add_u32_e32 v97, 0x3c00, v119
	v_add_f32_e32 v28, v39, v28
	v_fmac_f32_e32 v24, 0x3f167918, v58
	v_fmac_f32_e32 v16, 0xbf167918, v58
	ds_write2_b64 v97, v[2:3], v[6:7] offset1:1
	v_fma_f32 v6, -0.5, v37, v50
	v_fmac_f32_e32 v24, 0x3e9e377a, v28
	v_fmac_f32_e32 v16, 0x3e9e377a, v28
	v_add_f32_e32 v28, v33, v25
	v_add_f32_e32 v2, v11, v45
	v_mov_b32_e32 v7, v6
	v_mov_b32_e32 v11, v51
	v_fmac_f32_e32 v17, -0.5, v28
	v_sub_f32_e32 v28, v41, v33
	v_sub_f32_e32 v25, v29, v25
	v_fmac_f32_e32 v6, 0x3f737871, v10
	v_fmac_f32_e32 v51, 0xbf737871, v15
	v_add_f32_e32 v25, v28, v25
	v_mov_b32_e32 v28, v17
	v_fmac_f32_e32 v7, 0xbf737871, v10
	v_fmac_f32_e32 v11, 0x3f737871, v15
	v_add_f32_e32 v3, v23, v47
	v_fmac_f32_e32 v6, 0xbf167918, v36
	v_fmac_f32_e32 v51, 0x3f167918, v38
	v_fmac_f32_e32 v28, 0x3f737871, v96
	v_fmac_f32_e32 v17, 0xbf737871, v96
	v_fmac_f32_e32 v7, 0x3f167918, v36
	v_fmac_f32_e32 v11, 0xbf167918, v38
	v_fmac_f32_e32 v6, 0x3e9e377a, v2
	v_fmac_f32_e32 v51, 0x3e9e377a, v3
	v_fmac_f32_e32 v28, 0xbf167918, v94
	v_fmac_f32_e32 v17, 0x3f167918, v94
	v_fmac_f32_e32 v7, 0x3e9e377a, v2
	v_fmac_f32_e32 v11, 0x3e9e377a, v3
	v_mul_f32_e32 v23, 0x3e9e377a, v6
	v_mul_f32_e32 v37, 0x3e9e377a, v51
	v_fmac_f32_e32 v28, 0x3e9e377a, v25
	v_fmac_f32_e32 v17, 0x3e9e377a, v25
	v_mul_f32_e32 v25, 0x3f737871, v11
	v_mul_f32_e32 v29, 0xbf737871, v7
	v_fmac_f32_e32 v46, 0xbf737871, v36
	v_fma_f32 v23, v51, s7, -v23
	v_fmac_f32_e32 v25, 0x3e9e377a, v7
	v_fmac_f32_e32 v29, 0x3e9e377a, v11
	v_fma_f32 v11, v6, s6, -v37
	v_fmac_f32_e32 v46, 0xbf167918, v10
	v_fmac_f32_e32 v14, 0x3f737871, v38
	v_add_f32_e32 v2, v24, v25
	v_add_f32_e32 v3, v28, v29
	;; [unrolled: 1-line block ×4, first 2 shown]
	v_add_u32_e32 v32, 0x3c10, v119
	v_fmac_f32_e32 v46, 0x3e9e377a, v44
	v_fmac_f32_e32 v14, 0x3f167918, v15
	ds_write2_b64 v32, v[2:3], v[6:7] offset1:1
	v_fmac_f32_e32 v57, 0xbf737871, v58
	v_fmac_f32_e32 v93, 0x3f737871, v94
	;; [unrolled: 1-line block ×3, first 2 shown]
	v_mul_f32_e32 v6, 0x3f4f1bbd, v46
	v_fmac_f32_e32 v57, 0xbf167918, v91
	v_fmac_f32_e32 v93, 0x3f167918, v96
	v_fma_f32 v10, v14, s9, -v6
	v_mul_f32_e32 v6, 0x3f4f1bbd, v14
	v_fmac_f32_e32 v57, 0x3e9e377a, v52
	v_fmac_f32_e32 v93, 0x3e9e377a, v53
	v_fma_f32 v14, v46, s8, -v6
	v_sub_f32_e32 v2, v56, v48
	v_sub_f32_e32 v3, v92, v49
	v_add_f32_e32 v6, v57, v10
	v_add_f32_e32 v7, v93, v14
	v_add_u32_e32 v15, 0x3c20, v119
	ds_write2_b64 v15, v[6:7], v[2:3] offset1:1
	v_sub_f32_e32 v2, v59, v54
	v_sub_f32_e32 v3, v95, v55
	;; [unrolled: 1-line block ×4, first 2 shown]
	v_add_u32_e32 v15, 0x3c30, v119
	ds_write2_b64 v15, v[2:3], v[6:7] offset1:1
	v_add_f32_e32 v2, v20, v0
	v_add_f32_e32 v3, v21, v1
	;; [unrolled: 1-line block ×4, first 2 shown]
	v_sub_f32_e32 v15, v0, v4
	v_sub_f32_e32 v22, v4, v0
	v_add_f32_e32 v24, v5, v13
	v_add_f32_e32 v29, v0, v8
	v_sub_f32_e32 v32, v0, v8
	v_add_f32_e32 v0, v1, v9
	v_sub_f32_e32 v7, v5, v13
	v_sub_f32_e32 v25, v1, v5
	;; [unrolled: 1-line block ×4, first 2 shown]
	v_add_f32_e32 v1, v2, v12
	v_add_f32_e32 v2, v3, v13
	v_fma_f32 v24, -0.5, v24, v21
	v_fma_f32 v21, -0.5, v0, v21
	v_add_f32_e32 v0, v18, v34
	v_add_f32_e32 v6, v4, v12
	v_sub_f32_e32 v4, v4, v12
	v_sub_f32_e32 v3, v8, v12
	;; [unrolled: 1-line block ×5, first 2 shown]
	v_add_f32_e32 v8, v1, v8
	v_add_f32_e32 v9, v2, v9
	;; [unrolled: 1-line block ×5, first 2 shown]
	v_sub_f32_e32 v36, v34, v42
	v_sub_f32_e32 v40, v35, v43
	;; [unrolled: 1-line block ×4, first 2 shown]
	v_add_f32_e32 v1, v1, v43
	v_add_f32_e32 v38, v43, v31
	;; [unrolled: 1-line block ×6, first 2 shown]
	v_fma_f32 v40, -0.5, v2, v18
	v_fma_f32 v6, -0.5, v6, v20
	;; [unrolled: 1-line block ×3, first 2 shown]
	v_sub_f32_e32 v29, v43, v31
	v_sub_f32_e32 v37, v42, v34
	;; [unrolled: 1-line block ×5, first 2 shown]
	v_add_f32_e32 v43, v34, v26
	v_sub_f32_e32 v34, v34, v26
	v_add_f32_e32 v1, v1, v31
	v_sub_f32_e32 v30, v30, v26
	v_add_f32_e32 v26, v0, v26
	v_mov_b32_e32 v0, v40
	v_fma_f32 v38, -0.5, v38, v19
	v_add_f32_e32 v35, v35, v27
	v_sub_f32_e32 v31, v31, v27
	v_add_f32_e32 v27, v1, v27
	v_fmac_f32_e32 v0, 0x3f737871, v42
	v_mov_b32_e32 v1, v38
	v_fmac_f32_e32 v0, 0x3f167918, v29
	v_fmac_f32_e32 v1, 0xbf737871, v34
	v_mov_b32_e32 v46, v6
	v_mov_b32_e32 v47, v24
	v_fmac_f32_e32 v0, 0x3e9e377a, v33
	v_fmac_f32_e32 v1, 0xbf167918, v39
	;; [unrolled: 1-line block ×4, first 2 shown]
	v_add_f32_e32 v15, v15, v3
	v_fmac_f32_e32 v1, 0x3e9e377a, v36
	v_mul_f32_e32 v44, 0x3f4f1bbd, v0
	v_mul_f32_e32 v45, 0xbf167918, v0
	v_fmac_f32_e32 v46, 0x3f167918, v7
	v_fmac_f32_e32 v47, 0xbf167918, v4
	;; [unrolled: 1-line block ×6, first 2 shown]
	v_add_f32_e32 v0, v8, v26
	v_add_f32_e32 v1, v9, v27
	;; [unrolled: 1-line block ×4, first 2 shown]
	ds_write2_b64 v119, v[0:1], v[2:3] offset1:1
	v_add_f32_e32 v0, v22, v12
	v_mov_b32_e32 v12, v20
	v_fmac_f32_e32 v12, 0xbf737871, v7
	v_fmac_f32_e32 v20, 0x3f737871, v7
	;; [unrolled: 1-line block ×6, first 2 shown]
	v_add_f32_e32 v0, v5, v13
	v_mov_b32_e32 v5, v21
	v_fma_f32 v1, -0.5, v43, v18
	v_fmac_f32_e32 v5, 0x3f737871, v4
	v_fmac_f32_e32 v21, 0xbf737871, v4
	v_mov_b32_e32 v2, v1
	v_fma_f32 v3, -0.5, v35, v19
	v_fmac_f32_e32 v5, 0xbf167918, v32
	v_fmac_f32_e32 v21, 0x3f167918, v32
	;; [unrolled: 1-line block ×4, first 2 shown]
	v_mov_b32_e32 v13, v3
	v_fmac_f32_e32 v5, 0x3e9e377a, v0
	v_fmac_f32_e32 v21, 0x3e9e377a, v0
	v_add_f32_e32 v0, v37, v30
	v_fmac_f32_e32 v2, 0x3f167918, v42
	v_fmac_f32_e32 v1, 0xbf167918, v42
	;; [unrolled: 1-line block ×6, first 2 shown]
	v_add_f32_e32 v0, v41, v31
	v_fmac_f32_e32 v13, 0xbf167918, v34
	v_fmac_f32_e32 v3, 0x3f167918, v34
	;; [unrolled: 1-line block ×4, first 2 shown]
	v_mul_f32_e32 v19, 0xbf737871, v2
	v_mul_f32_e32 v0, 0x3e9e377a, v1
	;; [unrolled: 1-line block ×3, first 2 shown]
	v_fmac_f32_e32 v19, 0x3e9e377a, v13
	v_fma_f32 v13, v3, s7, -v0
	v_mul_f32_e32 v0, 0x3e9e377a, v3
	v_fmac_f32_e32 v40, 0xbf737871, v42
	v_fmac_f32_e32 v18, 0x3e9e377a, v2
	v_fma_f32 v22, v1, s6, -v0
	v_fmac_f32_e32 v40, 0xbf167918, v29
	v_fmac_f32_e32 v38, 0x3f737871, v34
	v_add_f32_e32 v0, v12, v18
	v_add_f32_e32 v1, v5, v19
	;; [unrolled: 1-line block ×4, first 2 shown]
	v_fmac_f32_e32 v40, 0x3e9e377a, v33
	v_fmac_f32_e32 v38, 0x3f167918, v39
	ds_write2_b64 v119, v[0:1], v[2:3] offset0:2 offset1:3
	v_fmac_f32_e32 v6, 0xbf737871, v28
	v_fmac_f32_e32 v24, 0x3f737871, v32
	;; [unrolled: 1-line block ×3, first 2 shown]
	v_mul_f32_e32 v2, 0x3f4f1bbd, v40
	v_fmac_f32_e32 v6, 0xbf167918, v7
	v_fmac_f32_e32 v24, 0x3f167918, v4
	v_fma_f32 v4, v38, s9, -v2
	v_mul_f32_e32 v2, 0x3f4f1bbd, v38
	v_fmac_f32_e32 v6, 0x3e9e377a, v15
	v_fmac_f32_e32 v24, 0x3e9e377a, v25
	v_fma_f32 v7, v40, s8, -v2
	v_sub_f32_e32 v0, v8, v26
	v_sub_f32_e32 v1, v9, v27
	v_add_f32_e32 v2, v6, v4
	v_add_f32_e32 v3, v24, v7
	ds_write2_b64 v119, v[2:3], v[0:1] offset0:4 offset1:5
	v_sub_f32_e32 v0, v46, v44
	v_sub_f32_e32 v1, v47, v45
	v_sub_f32_e32 v2, v12, v18
	v_sub_f32_e32 v3, v5, v19
	ds_write2_b64 v119, v[0:1], v[2:3] offset0:6 offset1:7
	v_sub_f32_e32 v0, v20, v13
	v_sub_f32_e32 v1, v21, v22
	v_sub_f32_e32 v2, v6, v4
	v_sub_f32_e32 v3, v24, v7
	;; [unrolled: 5-line block ×3, first 2 shown]
	v_add_u32_e32 v4, 0x3c40, v119
	s_movk_i32 s6, 0xcd
	v_add_u16_e32 v8, 0x60, v62
	ds_write2_b64 v4, v[0:1], v[2:3] offset1:1
	v_mul_lo_u16_sdwa v0, v8, s6 dst_sel:DWORD dst_unused:UNUSED_PAD src0_sel:BYTE_0 src1_sel:DWORD
	v_lshrrev_b16_e32 v16, 11, v0
	v_mul_lo_u16_e32 v0, 10, v16
	v_sub_u16_e32 v17, v8, v0
	v_mov_b32_e32 v9, 5
	v_mul_u32_u24_sdwa v0, v17, v9 dst_sel:DWORD dst_unused:UNUSED_PAD src0_sel:BYTE_0 src1_sel:DWORD
	s_mov_b32 s7, 0xcccd
	v_add_u32_e32 v5, 0xc0, v62
	v_lshlrev_b32_e32 v35, 3, v0
	v_mul_u32_u24_sdwa v0, v5, s7 dst_sel:DWORD dst_unused:UNUSED_PAD src0_sel:WORD_0 src1_sel:DWORD
	v_lshrrev_b32_e32 v14, 19, v0
	v_mul_lo_u16_e32 v0, 10, v14
	v_sub_u16_e32 v15, v5, v0
	v_mul_u32_u24_e32 v0, 5, v15
	v_add_u32_e32 v7, 0x120, v62
	v_lshlrev_b32_e32 v37, 3, v0
	v_mul_u32_u24_sdwa v0, v7, s7 dst_sel:DWORD dst_unused:UNUSED_PAD src0_sel:WORD_0 src1_sel:DWORD
	v_lshrrev_b32_e32 v12, 19, v0
	v_mul_lo_u16_e32 v0, 10, v12
	s_waitcnt lgkmcnt(0)
	s_barrier
	global_load_dwordx2 v[22:23], v35, s[12:13] offset:32
	global_load_dwordx2 v[26:27], v37, s[12:13] offset:32
	v_sub_u16_e32 v13, v7, v0
	v_mul_u32_u24_e32 v0, 5, v13
	v_or_b32_e32 v6, 0x180, v62
	v_lshlrev_b32_e32 v24, 3, v0
	v_mul_u32_u24_sdwa v0, v6, s7 dst_sel:DWORD dst_unused:UNUSED_PAD src0_sel:WORD_0 src1_sel:DWORD
	v_lshrrev_b32_e32 v10, 19, v0
	v_mul_lo_u16_e32 v0, 10, v10
	v_sub_u16_e32 v11, v6, v0
	global_load_dwordx2 v[28:29], v24, s[12:13] offset:32
	v_mul_u32_u24_e32 v0, 5, v11
	v_lshlrev_b32_e32 v18, 3, v0
	global_load_dwordx2 v[30:31], v18, s[12:13] offset:32
	v_mul_lo_u16_sdwa v0, v62, s6 dst_sel:DWORD dst_unused:UNUSED_PAD src0_sel:BYTE_0 src1_sel:DWORD
	v_lshrrev_b16_e32 v4, 11, v0
	v_mul_lo_u16_e32 v0, 10, v4
	v_sub_u16_e32 v38, v62, v0
	v_mul_u32_u24_sdwa v0, v38, v9 dst_sel:DWORD dst_unused:UNUSED_PAD src0_sel:BYTE_0 src1_sel:DWORD
	v_lshlrev_b32_e32 v39, 3, v0
	global_load_dwordx2 v[32:33], v39, s[12:13] offset:32
	global_load_dwordx4 v[0:3], v18, s[12:13] offset:16
	global_load_dwordx4 v[43:46], v24, s[12:13] offset:16
	;; [unrolled: 1-line block ×5, first 2 shown]
	global_load_dwordx4 v[91:94], v18, s[12:13]
	global_load_dwordx4 v[95:98], v24, s[12:13]
	;; [unrolled: 1-line block ×5, first 2 shown]
	ds_read2_b64 v[18:21], v87 offset0:64 offset1:160
	ds_read2_b64 v[111:114], v84 offset1:96
	v_mul_u32_u24_e32 v14, 0x1e0, v14
	v_lshlrev_b32_e32 v15, 3, v15
	s_movk_i32 s6, 0x89
	s_waitcnt vmcnt(14) lgkmcnt(1)
	v_mul_f32_e32 v25, v19, v23
	v_mul_f32_e32 v42, v18, v23
	v_fma_f32 v41, v18, v22, -v25
	v_fmac_f32_e32 v42, v19, v22
	ds_read2_b64 v[22:25], v81 offset0:128 offset1:224
	s_waitcnt vmcnt(13)
	v_mul_f32_e32 v18, v21, v27
	v_fma_f32 v34, v20, v26, -v18
	v_mul_f32_e32 v36, v20, v27
	v_fmac_f32_e32 v36, v21, v26
	s_waitcnt vmcnt(12) lgkmcnt(0)
	v_mul_f32_e32 v18, v23, v29
	v_mul_f32_e32 v27, v22, v29
	v_fma_f32 v26, v22, v28, -v18
	v_fmac_f32_e32 v27, v23, v28
	ds_read2_b64 v[20:23], v78 offset1:96
	s_waitcnt vmcnt(11)
	v_mul_f32_e32 v18, v25, v31
	v_mul_f32_e32 v19, v24, v31
	v_fma_f32 v18, v24, v30, -v18
	v_fmac_f32_e32 v19, v25, v30
	ds_read2_b64 v[28:31], v80 offset0:64 offset1:160
	s_waitcnt vmcnt(10) lgkmcnt(1)
	v_mul_f32_e32 v24, v23, v33
	v_fma_f32 v115, v22, v32, -v24
	v_mul_f32_e32 v116, v22, v33
	s_waitcnt vmcnt(9)
	v_mul_f32_e32 v22, v21, v3
	v_mul_f32_e32 v24, v20, v3
	v_fma_f32 v22, v20, v2, -v22
	v_fmac_f32_e32 v24, v21, v2
	s_waitcnt lgkmcnt(0)
	v_mul_f32_e32 v2, v31, v1
	v_mul_f32_e32 v21, v30, v1
	v_fma_f32 v20, v30, v0, -v2
	v_fmac_f32_e32 v21, v31, v0
	ds_read2_b64 v[0:3], v83 offset0:64 offset1:160
	v_fmac_f32_e32 v116, v23, v32
	s_waitcnt vmcnt(8)
	v_mul_f32_e32 v23, v29, v44
	v_fma_f32 v30, v28, v43, -v23
	v_mul_f32_e32 v31, v28, v44
	s_waitcnt lgkmcnt(0)
	v_mul_f32_e32 v23, v3, v46
	v_fma_f32 v35, v2, v45, -v23
	v_mul_f32_e32 v37, v2, v46
	s_waitcnt vmcnt(7)
	v_mul_f32_e32 v2, v1, v51
	v_fmac_f32_e32 v37, v3, v45
	v_fma_f32 v45, v0, v50, -v2
	v_mul_f32_e32 v47, v0, v51
	v_mul_f32_e32 v0, v114, v49
	v_fmac_f32_e32 v31, v29, v43
	v_fmac_f32_e32 v47, v1, v50
	v_fma_f32 v43, v113, v48, -v0
	ds_read2_b64 v[0:3], v89 offset0:128 offset1:224
	v_mul_f32_e32 v44, v113, v49
	v_fmac_f32_e32 v44, v114, v48
	ds_read2_b64 v[48:51], v86 offset0:64 offset1:160
	s_waitcnt vmcnt(6)
	v_mul_f32_e32 v23, v112, v53
	v_fma_f32 v113, v111, v52, -v23
	v_mul_f32_e32 v111, v111, v53
	s_waitcnt lgkmcnt(1)
	v_mul_f32_e32 v23, v3, v55
	v_fmac_f32_e32 v111, v112, v52
	v_fma_f32 v112, v2, v54, -v23
	v_mul_f32_e32 v114, v2, v55
	s_waitcnt vmcnt(5)
	v_mul_f32_e32 v2, v1, v59
	v_fmac_f32_e32 v114, v3, v54
	v_fma_f32 v53, v0, v58, -v2
	v_mul_f32_e32 v54, v0, v59
	s_waitcnt lgkmcnt(0)
	v_mul_f32_e32 v0, v51, v57
	v_fmac_f32_e32 v54, v1, v58
	v_fma_f32 v55, v50, v56, -v0
	ds_read2_b64 v[0:3], v88 offset1:96
	v_mul_f32_e32 v57, v50, v57
	s_waitcnt vmcnt(4)
	v_mul_f32_e32 v23, v49, v94
	v_mul_f32_e32 v29, v48, v94
	v_fmac_f32_e32 v57, v51, v56
	v_fma_f32 v28, v48, v93, -v23
	v_fmac_f32_e32 v29, v49, v93
	ds_read2_b64 v[48:51], v76 offset0:128 offset1:224
	s_waitcnt lgkmcnt(1)
	v_mul_f32_e32 v23, v3, v92
	v_fma_f32 v23, v2, v91, -v23
	v_mul_f32_e32 v25, v2, v92
	s_waitcnt vmcnt(3)
	v_mul_f32_e32 v2, v1, v96
	v_fma_f32 v32, v0, v95, -v2
	v_mul_f32_e32 v33, v0, v96
	s_waitcnt lgkmcnt(0)
	v_mul_f32_e32 v0, v51, v98
	v_fmac_f32_e32 v25, v3, v91
	v_fmac_f32_e32 v33, v1, v95
	v_fma_f32 v39, v50, v97, -v0
	ds_read2_b64 v[0:3], v79 offset0:64 offset1:160
	v_mul_f32_e32 v40, v50, v98
	s_waitcnt vmcnt(1)
	v_mul_f32_e32 v59, v48, v102
	v_fmac_f32_e32 v40, v51, v97
	v_mul_f32_e32 v46, v49, v102
	v_fmac_f32_e32 v59, v49, v101
	ds_read2_b64 v[49:52], v82 offset0:64 offset1:160
	v_fma_f32 v58, v48, v101, -v46
	s_waitcnt lgkmcnt(1)
	v_mul_f32_e32 v46, v3, v100
	v_fma_f32 v46, v2, v99, -v46
	v_mul_f32_e32 v48, v2, v100
	v_mul_f32_e32 v2, v1, v104
	v_fma_f32 v91, v0, v103, -v2
	v_mul_f32_e32 v92, v0, v104
	s_waitcnt lgkmcnt(0)
	v_mul_f32_e32 v0, v52, v106
	v_fmac_f32_e32 v48, v3, v99
	v_fmac_f32_e32 v92, v1, v103
	v_fma_f32 v93, v51, v105, -v0
	v_mul_f32_e32 v94, v51, v106
	s_waitcnt vmcnt(0)
	v_mul_f32_e32 v51, v50, v110
	ds_read2_b64 v[0:3], v85 offset0:128 offset1:224
	v_mul_f32_e32 v95, v49, v110
	v_fmac_f32_e32 v94, v52, v105
	v_fma_f32 v56, v49, v109, -v51
	v_fmac_f32_e32 v95, v50, v109
	ds_read2_b64 v[49:52], v77 offset1:96
	s_waitcnt lgkmcnt(1)
	v_mul_f32_e32 v96, v108, v3
	v_fma_f32 v96, v107, v2, -v96
	v_mul_f32_e32 v97, v108, v2
	v_fmac_f32_e32 v97, v107, v3
	s_waitcnt lgkmcnt(0)
	v_add_f32_e32 v2, v50, v95
	v_add_f32_e32 v98, v2, v54
	v_sub_f32_e32 v99, v95, v54
	v_add_f32_e32 v2, v95, v54
	v_add_f32_e32 v3, v49, v56
	;; [unrolled: 1-line block ×5, first 2 shown]
	v_sub_f32_e32 v100, v56, v53
	v_add_f32_e32 v53, v96, v55
	v_fmac_f32_e32 v96, -0.5, v54
	v_add_f32_e32 v54, v97, v57
	v_add_f32_e32 v101, v54, v116
	;; [unrolled: 1-line block ×3, first 2 shown]
	v_fmac_f32_e32 v97, -0.5, v54
	v_sub_f32_e32 v103, v55, v115
	v_mov_b32_e32 v54, v97
	v_sub_f32_e32 v102, v57, v116
	v_add_f32_e32 v57, v53, v115
	v_mov_b32_e32 v53, v96
	v_fmac_f32_e32 v54, 0xbf5db3d7, v103
	v_fmac_f32_e32 v53, 0x3f5db3d7, v102
	v_mul_f32_e32 v104, 0x3f5db3d7, v54
	v_fma_f32 v106, -0.5, v3, v49
	v_fma_f32 v108, -0.5, v2, v50
	v_fmac_f32_e32 v104, 0.5, v53
	v_mul_f32_e32 v105, 0xbf5db3d7, v53
	v_mul_u32_u24_e32 v53, 0x1e0, v4
	v_mov_b32_e32 v4, 3
	v_mov_b32_e32 v107, v106
	;; [unrolled: 1-line block ×3, first 2 shown]
	v_fmac_f32_e32 v105, 0.5, v54
	v_lshlrev_b32_sdwa v38, v4, v38 dst_sel:DWORD dst_unused:UNUSED_PAD src0_sel:DWORD src1_sel:BYTE_0
	v_fmac_f32_e32 v107, 0x3f5db3d7, v99
	v_fmac_f32_e32 v109, 0xbf5db3d7, v100
	v_add3_u32 v38, 0, v53, v38
	v_add_f32_e32 v2, v95, v57
	v_add_f32_e32 v3, v98, v101
	;; [unrolled: 1-line block ×4, first 2 shown]
	v_fmac_f32_e32 v96, 0xbf5db3d7, v102
	v_fmac_f32_e32 v97, 0x3f5db3d7, v103
	ds_read2_b64 v[53:56], v90 offset0:64 offset1:160
	s_waitcnt lgkmcnt(0)
	s_barrier
	ds_write2_b64 v38, v[2:3], v[49:50] offset1:10
	v_sub_f32_e32 v2, v95, v57
	v_mul_f32_e32 v57, -0.5, v96
	v_mul_f32_e32 v95, -0.5, v97
	v_fmac_f32_e32 v106, 0xbf5db3d7, v99
	v_fmac_f32_e32 v108, 0x3f5db3d7, v100
	;; [unrolled: 1-line block ×4, first 2 shown]
	v_sub_f32_e32 v3, v98, v101
	v_add_f32_e32 v49, v106, v57
	v_add_f32_e32 v50, v108, v95
	ds_write2_b64 v38, v[49:50], v[2:3] offset0:20 offset1:30
	v_sub_f32_e32 v2, v107, v104
	v_sub_f32_e32 v3, v109, v105
	;; [unrolled: 1-line block ×4, first 2 shown]
	ds_write2_b64 v38, v[2:3], v[49:50] offset0:40 offset1:50
	v_add_f32_e32 v2, v52, v94
	v_add_f32_e32 v38, v2, v114
	;; [unrolled: 1-line block ×3, first 2 shown]
	v_fmac_f32_e32 v52, -0.5, v2
	v_add_f32_e32 v2, v51, v93
	v_add_f32_e32 v50, v2, v112
	;; [unrolled: 1-line block ×3, first 2 shown]
	v_sub_f32_e32 v57, v93, v112
	v_add_f32_e32 v93, v113, v41
	v_add_f32_e32 v3, v91, v113
	v_fmac_f32_e32 v91, -0.5, v93
	v_add_f32_e32 v93, v92, v111
	v_sub_f32_e32 v49, v94, v114
	v_add_f32_e32 v93, v93, v42
	v_sub_f32_e32 v94, v111, v42
	v_add_f32_e32 v42, v111, v42
	v_fmac_f32_e32 v92, -0.5, v42
	v_add_f32_e32 v42, v3, v41
	v_sub_f32_e32 v41, v113, v41
	v_mov_b32_e32 v3, v91
	v_mov_b32_e32 v95, v92
	v_fmac_f32_e32 v3, 0x3f5db3d7, v94
	v_fmac_f32_e32 v95, 0xbf5db3d7, v41
	v_fma_f32 v51, -0.5, v2, v51
	v_mul_f32_e32 v96, 0x3f5db3d7, v95
	v_mul_f32_e32 v97, 0xbf5db3d7, v3
	v_mov_b32_e32 v98, v51
	v_mov_b32_e32 v99, v52
	v_fmac_f32_e32 v96, 0.5, v3
	v_fmac_f32_e32 v97, 0.5, v95
	v_mul_u32_u24_e32 v3, 0x1e0, v16
	v_lshlrev_b32_sdwa v16, v4, v17 dst_sel:DWORD dst_unused:UNUSED_PAD src0_sel:DWORD src1_sel:BYTE_0
	v_fmac_f32_e32 v98, 0x3f5db3d7, v49
	v_fmac_f32_e32 v99, 0xbf5db3d7, v57
	v_add3_u32 v95, 0, v3, v16
	v_add_f32_e32 v2, v50, v42
	v_add_f32_e32 v3, v38, v93
	;; [unrolled: 1-line block ×4, first 2 shown]
	v_fmac_f32_e32 v91, 0xbf5db3d7, v94
	v_fmac_f32_e32 v92, 0x3f5db3d7, v41
	ds_write2_b64 v95, v[2:3], v[16:17] offset1:10
	v_sub_f32_e32 v3, v38, v93
	v_mul_f32_e32 v38, -0.5, v91
	v_mul_f32_e32 v41, -0.5, v92
	v_fmac_f32_e32 v51, 0xbf5db3d7, v49
	v_fmac_f32_e32 v52, 0x3f5db3d7, v57
	;; [unrolled: 1-line block ×4, first 2 shown]
	v_sub_f32_e32 v2, v50, v42
	v_add_f32_e32 v16, v51, v38
	v_add_f32_e32 v17, v52, v41
	ds_write2_b64 v95, v[16:17], v[2:3] offset0:20 offset1:30
	v_sub_f32_e32 v3, v52, v41
	v_sub_f32_e32 v2, v51, v38
	;; [unrolled: 1-line block ×4, first 2 shown]
	ds_write2_b64 v95, v[16:17], v[2:3] offset0:40 offset1:50
	v_add_f32_e32 v3, v53, v58
	v_add_f32_e32 v38, v3, v45
	;; [unrolled: 1-line block ×3, first 2 shown]
	v_sub_f32_e32 v41, v58, v45
	v_add_f32_e32 v45, v43, v34
	v_add_f32_e32 v2, v54, v59
	;; [unrolled: 1-line block ×3, first 2 shown]
	v_fmac_f32_e32 v46, -0.5, v45
	v_add_f32_e32 v45, v48, v44
	v_add_f32_e32 v16, v2, v47
	v_sub_f32_e32 v17, v59, v47
	v_add_f32_e32 v2, v59, v47
	v_add_f32_e32 v45, v45, v36
	v_sub_f32_e32 v47, v44, v36
	v_add_f32_e32 v36, v44, v36
	v_fmac_f32_e32 v48, -0.5, v36
	v_add_f32_e32 v36, v42, v34
	v_sub_f32_e32 v34, v43, v34
	v_mov_b32_e32 v43, v48
	v_mov_b32_e32 v42, v46
	v_fmac_f32_e32 v43, 0xbf5db3d7, v34
	v_fmac_f32_e32 v42, 0x3f5db3d7, v47
	v_mul_f32_e32 v44, 0x3f5db3d7, v43
	v_fma_f32 v49, -0.5, v3, v53
	v_fma_f32 v51, -0.5, v2, v54
	v_fmac_f32_e32 v44, 0.5, v42
	v_mul_f32_e32 v42, 0xbf5db3d7, v42
	v_mov_b32_e32 v50, v49
	v_mov_b32_e32 v52, v51
	v_fmac_f32_e32 v42, 0.5, v43
	v_fmac_f32_e32 v50, 0x3f5db3d7, v17
	v_fmac_f32_e32 v52, 0xbf5db3d7, v41
	v_add3_u32 v43, 0, v14, v15
	v_add_f32_e32 v2, v38, v36
	v_add_f32_e32 v3, v16, v45
	;; [unrolled: 1-line block ×4, first 2 shown]
	v_fmac_f32_e32 v46, 0xbf5db3d7, v47
	v_fmac_f32_e32 v48, 0x3f5db3d7, v34
	ds_write2_b64 v43, v[2:3], v[14:15] offset1:10
	v_sub_f32_e32 v3, v16, v45
	v_fmac_f32_e32 v49, 0xbf5db3d7, v17
	v_mul_f32_e32 v16, -0.5, v46
	v_mul_f32_e32 v17, -0.5, v48
	v_fmac_f32_e32 v51, 0x3f5db3d7, v41
	v_fmac_f32_e32 v16, 0x3f5db3d7, v48
	v_fmac_f32_e32 v17, 0xbf5db3d7, v46
	v_sub_f32_e32 v2, v38, v36
	v_add_f32_e32 v14, v49, v16
	v_add_f32_e32 v15, v51, v17
	ds_write2_b64 v43, v[14:15], v[2:3] offset0:20 offset1:30
	v_sub_f32_e32 v2, v50, v44
	v_sub_f32_e32 v3, v52, v42
	;; [unrolled: 1-line block ×4, first 2 shown]
	ds_write2_b64 v43, v[2:3], v[14:15] offset0:40 offset1:50
	v_add_f32_e32 v2, v56, v40
	v_add_f32_e32 v14, v2, v37
	;; [unrolled: 1-line block ×4, first 2 shown]
	v_fmac_f32_e32 v56, -0.5, v2
	v_add_f32_e32 v2, v55, v39
	v_add_f32_e32 v3, v32, v30
	v_fmac_f32_e32 v32, -0.5, v34
	v_add_f32_e32 v34, v33, v31
	v_add_f32_e32 v16, v2, v35
	v_add_f32_e32 v2, v39, v35
	v_sub_f32_e32 v17, v39, v35
	v_add_f32_e32 v34, v34, v27
	v_sub_f32_e32 v35, v31, v27
	v_add_f32_e32 v27, v31, v27
	v_fmac_f32_e32 v33, -0.5, v27
	v_add_f32_e32 v27, v3, v26
	v_sub_f32_e32 v26, v30, v26
	v_mov_b32_e32 v3, v32
	v_mov_b32_e32 v30, v33
	v_sub_f32_e32 v15, v40, v37
	v_fmac_f32_e32 v3, 0x3f5db3d7, v35
	v_fmac_f32_e32 v30, 0xbf5db3d7, v26
	v_fma_f32 v37, -0.5, v2, v55
	v_mul_f32_e32 v31, 0x3f5db3d7, v30
	v_mul_f32_e32 v36, 0xbf5db3d7, v3
	v_mov_b32_e32 v38, v37
	v_mov_b32_e32 v39, v56
	v_fmac_f32_e32 v31, 0.5, v3
	v_fmac_f32_e32 v36, 0.5, v30
	v_mul_u32_u24_e32 v3, 0x1e0, v12
	v_lshlrev_b32_e32 v12, 3, v13
	v_fmac_f32_e32 v38, 0x3f5db3d7, v15
	v_fmac_f32_e32 v39, 0xbf5db3d7, v17
	v_add3_u32 v30, 0, v3, v12
	v_add_f32_e32 v2, v16, v27
	v_add_f32_e32 v3, v14, v34
	;; [unrolled: 1-line block ×4, first 2 shown]
	v_fmac_f32_e32 v32, 0xbf5db3d7, v35
	v_fmac_f32_e32 v33, 0x3f5db3d7, v26
	ds_write2_b64 v30, v[2:3], v[12:13] offset1:10
	v_sub_f32_e32 v3, v14, v34
	v_fmac_f32_e32 v37, 0xbf5db3d7, v15
	v_mul_f32_e32 v14, -0.5, v32
	v_mul_f32_e32 v15, -0.5, v33
	v_fmac_f32_e32 v56, 0x3f5db3d7, v17
	v_fmac_f32_e32 v14, 0x3f5db3d7, v33
	;; [unrolled: 1-line block ×3, first 2 shown]
	v_sub_f32_e32 v2, v16, v27
	v_add_f32_e32 v12, v37, v14
	v_add_f32_e32 v13, v56, v15
	ds_write2_b64 v30, v[12:13], v[2:3] offset0:20 offset1:30
	v_sub_f32_e32 v3, v56, v15
	v_sub_f32_e32 v2, v37, v14
	;; [unrolled: 1-line block ×4, first 2 shown]
	v_add_f32_e32 v16, v20, v18
	ds_write2_b64 v30, v[12:13], v[2:3] offset0:40 offset1:50
	v_add_f32_e32 v2, v1, v29
	v_add_f32_e32 v3, v23, v20
	v_fmac_f32_e32 v23, -0.5, v16
	v_add_f32_e32 v16, v25, v21
	v_add_f32_e32 v12, v2, v24
	;; [unrolled: 1-line block ×4, first 2 shown]
	v_sub_f32_e32 v17, v21, v19
	v_add_f32_e32 v19, v21, v19
	v_fmac_f32_e32 v1, -0.5, v2
	v_add_f32_e32 v2, v0, v28
	v_fmac_f32_e32 v25, -0.5, v19
	v_add_f32_e32 v14, v2, v22
	v_add_f32_e32 v2, v28, v22
	;; [unrolled: 1-line block ×3, first 2 shown]
	v_sub_f32_e32 v18, v20, v18
	v_mov_b32_e32 v3, v23
	v_mov_b32_e32 v20, v25
	v_fmac_f32_e32 v3, 0x3f5db3d7, v17
	v_fmac_f32_e32 v20, 0xbf5db3d7, v18
	v_fma_f32 v0, -0.5, v2, v0
	v_sub_f32_e32 v13, v29, v24
	v_sub_f32_e32 v15, v28, v22
	v_mul_f32_e32 v21, 0x3f5db3d7, v20
	v_mul_f32_e32 v22, 0xbf5db3d7, v3
	v_mov_b32_e32 v24, v0
	v_mov_b32_e32 v26, v1
	v_fmac_f32_e32 v21, 0.5, v3
	v_fmac_f32_e32 v22, 0.5, v20
	v_mul_u32_u24_e32 v3, 0x1e0, v10
	v_lshlrev_b32_e32 v10, 3, v11
	v_fmac_f32_e32 v24, 0x3f5db3d7, v13
	v_fmac_f32_e32 v26, 0xbf5db3d7, v15
	v_add3_u32 v20, 0, v3, v10
	v_add_f32_e32 v2, v14, v19
	v_add_f32_e32 v3, v12, v16
	;; [unrolled: 1-line block ×4, first 2 shown]
	v_fmac_f32_e32 v23, 0xbf5db3d7, v17
	v_fmac_f32_e32 v25, 0x3f5db3d7, v18
	ds_write2_b64 v20, v[2:3], v[10:11] offset1:10
	v_sub_f32_e32 v3, v12, v16
	v_fmac_f32_e32 v0, 0xbf5db3d7, v13
	v_mul_f32_e32 v12, -0.5, v23
	v_mul_f32_e32 v13, -0.5, v25
	v_fmac_f32_e32 v1, 0x3f5db3d7, v15
	v_fmac_f32_e32 v12, 0x3f5db3d7, v25
	;; [unrolled: 1-line block ×3, first 2 shown]
	v_sub_f32_e32 v2, v14, v19
	v_add_f32_e32 v10, v0, v12
	v_add_f32_e32 v11, v1, v13
	ds_write2_b64 v20, v[10:11], v[2:3] offset0:20 offset1:30
	v_sub_f32_e32 v1, v1, v13
	v_sub_f32_e32 v0, v0, v12
	;; [unrolled: 1-line block ×4, first 2 shown]
	ds_write2_b64 v20, v[2:3], v[0:1] offset0:40 offset1:50
	v_mul_lo_u16_sdwa v0, v8, s6 dst_sel:DWORD dst_unused:UNUSED_PAD src0_sel:BYTE_0 src1_sel:DWORD
	v_lshrrev_b16_e32 v13, 13, v0
	v_mul_lo_u16_e32 v0, 60, v13
	v_sub_u16_e32 v14, v8, v0
	v_mul_u32_u24_sdwa v0, v14, v9 dst_sel:DWORD dst_unused:UNUSED_PAD src0_sel:BYTE_0 src1_sel:DWORD
	s_mov_b32 s6, 0x8889
	v_lshlrev_b32_e32 v31, 3, v0
	v_mul_u32_u24_sdwa v0, v5, s6 dst_sel:DWORD dst_unused:UNUSED_PAD src0_sel:WORD_0 src1_sel:DWORD
	v_lshrrev_b32_e32 v11, 21, v0
	v_mul_lo_u16_e32 v0, 60, v11
	v_sub_u16_e32 v12, v5, v0
	v_mul_u32_u24_e32 v0, 5, v12
	v_lshlrev_b32_e32 v34, 3, v0
	v_mul_u32_u24_sdwa v0, v7, s6 dst_sel:DWORD dst_unused:UNUSED_PAD src0_sel:WORD_0 src1_sel:DWORD
	v_lshrrev_b32_e32 v9, 21, v0
	v_mul_lo_u16_e32 v0, 60, v9
	s_waitcnt lgkmcnt(0)
	s_barrier
	global_load_dwordx2 v[19:20], v31, s[12:13] offset:432
	global_load_dwordx2 v[23:24], v34, s[12:13] offset:432
	v_sub_u16_e32 v10, v7, v0
	v_mul_u32_u24_e32 v0, 5, v10
	v_lshlrev_b32_e32 v21, 3, v0
	v_mul_u32_u24_sdwa v0, v6, s6 dst_sel:DWORD dst_unused:UNUSED_PAD src0_sel:WORD_0 src1_sel:DWORD
	v_lshrrev_b32_e32 v5, 21, v0
	v_mul_lo_u16_e32 v0, 60, v5
	v_sub_u16_e32 v8, v6, v0
	global_load_dwordx2 v[25:26], v21, s[12:13] offset:432
	v_mul_u32_u24_e32 v0, 5, v8
	v_lshlrev_b32_e32 v15, 3, v0
	global_load_dwordx2 v[27:28], v15, s[12:13] offset:432
	v_subrev_u32_e32 v0, 60, v62
	v_cndmask_b32_e32 v35, v0, v62, vcc
	v_mul_i32_i24_e32 v0, 5, v35
	v_mov_b32_e32 v1, v63
	v_lshlrev_b64 v[0:1], 3, v[0:1]
	v_mov_b32_e32 v6, s13
	v_add_co_u32_e32 v29, vcc, s12, v0
	v_addc_co_u32_e32 v30, vcc, v6, v1, vcc
	global_load_dwordx2 v[36:37], v[29:30], off offset:432
	global_load_dwordx4 v[0:3], v15, s[12:13] offset:416
	global_load_dwordx4 v[40:43], v21, s[12:13] offset:416
	;; [unrolled: 1-line block ×4, first 2 shown]
	global_load_dwordx4 v[53:56], v[29:30], off offset:416
	global_load_dwordx4 v[91:94], v15, s[12:13] offset:400
	global_load_dwordx4 v[95:98], v21, s[12:13] offset:400
	global_load_dwordx4 v[103:106], v31, s[12:13] offset:400
	global_load_dwordx4 v[99:102], v34, s[12:13] offset:400
	global_load_dwordx4 v[107:110], v[29:30], off offset:400
	ds_read2_b64 v[15:18], v87 offset0:64 offset1:160
	ds_read2_b64 v[111:114], v84 offset1:96
	v_cmp_lt_u32_e32 vcc, 59, v62
	v_lshlrev_b32_e32 v35, 3, v35
	v_mul_u32_u24_e32 v11, 0xb40, v11
	v_lshlrev_b32_e32 v12, 3, v12
	s_movk_i32 s6, 0x48
	s_waitcnt vmcnt(14) lgkmcnt(1)
	v_mul_f32_e32 v22, v16, v20
	v_mul_f32_e32 v39, v15, v20
	v_fma_f32 v38, v15, v19, -v22
	v_fmac_f32_e32 v39, v16, v19
	ds_read2_b64 v[19:22], v81 offset0:128 offset1:224
	s_waitcnt vmcnt(13)
	v_mul_f32_e32 v15, v18, v24
	v_fma_f32 v32, v17, v23, -v15
	v_mul_f32_e32 v33, v17, v24
	v_fmac_f32_e32 v33, v18, v23
	s_waitcnt vmcnt(12) lgkmcnt(0)
	v_mul_f32_e32 v15, v20, v26
	v_mul_f32_e32 v24, v19, v26
	v_fma_f32 v23, v19, v25, -v15
	v_fmac_f32_e32 v24, v20, v25
	ds_read2_b64 v[17:20], v78 offset1:96
	s_waitcnt vmcnt(11)
	v_mul_f32_e32 v15, v22, v28
	v_mul_f32_e32 v16, v21, v28
	v_fma_f32 v15, v21, v27, -v15
	v_fmac_f32_e32 v16, v22, v27
	ds_read2_b64 v[25:28], v80 offset0:64 offset1:160
	s_waitcnt vmcnt(10) lgkmcnt(1)
	v_mul_f32_e32 v21, v20, v37
	v_fma_f32 v57, v19, v36, -v21
	v_mul_f32_e32 v58, v19, v37
	s_waitcnt vmcnt(9)
	v_mul_f32_e32 v19, v18, v3
	v_mul_f32_e32 v21, v17, v3
	v_fma_f32 v19, v17, v2, -v19
	v_fmac_f32_e32 v21, v18, v2
	s_waitcnt lgkmcnt(0)
	v_mul_f32_e32 v2, v28, v1
	v_mul_f32_e32 v18, v27, v1
	v_fma_f32 v17, v27, v0, -v2
	v_fmac_f32_e32 v18, v28, v0
	ds_read2_b64 v[0:3], v83 offset0:64 offset1:160
	v_fmac_f32_e32 v58, v20, v36
	s_waitcnt vmcnt(8)
	v_mul_f32_e32 v20, v26, v41
	v_fma_f32 v27, v25, v40, -v20
	v_mul_f32_e32 v28, v25, v41
	s_waitcnt lgkmcnt(0)
	v_mul_f32_e32 v20, v3, v43
	v_fma_f32 v31, v2, v42, -v20
	v_mul_f32_e32 v34, v2, v43
	s_waitcnt vmcnt(7)
	v_mul_f32_e32 v2, v1, v48
	v_fmac_f32_e32 v34, v3, v42
	v_fma_f32 v42, v0, v47, -v2
	v_mul_f32_e32 v44, v0, v48
	v_mul_f32_e32 v0, v114, v46
	v_fmac_f32_e32 v28, v26, v40
	v_fmac_f32_e32 v44, v1, v47
	v_fma_f32 v40, v113, v45, -v0
	ds_read2_b64 v[0:3], v89 offset0:128 offset1:224
	v_mul_f32_e32 v41, v113, v46
	v_fmac_f32_e32 v41, v114, v45
	ds_read2_b64 v[45:48], v86 offset0:64 offset1:160
	s_waitcnt vmcnt(6)
	v_mul_f32_e32 v20, v112, v50
	v_fma_f32 v59, v111, v49, -v20
	v_mul_f32_e32 v111, v111, v50
	s_waitcnt lgkmcnt(1)
	v_mul_f32_e32 v20, v3, v52
	v_fmac_f32_e32 v111, v112, v49
	v_fma_f32 v112, v2, v51, -v20
	v_mul_f32_e32 v113, v2, v52
	s_waitcnt vmcnt(5)
	v_mul_f32_e32 v2, v1, v56
	v_fmac_f32_e32 v113, v3, v51
	v_fma_f32 v50, v0, v55, -v2
	v_mul_f32_e32 v51, v0, v56
	s_waitcnt lgkmcnt(0)
	v_mul_f32_e32 v0, v54, v48
	v_fmac_f32_e32 v51, v1, v55
	v_fma_f32 v52, v53, v47, -v0
	ds_read2_b64 v[0:3], v88 offset1:96
	v_mul_f32_e32 v54, v54, v47
	s_waitcnt vmcnt(4)
	v_mul_f32_e32 v20, v46, v94
	v_mul_f32_e32 v26, v45, v94
	v_fmac_f32_e32 v54, v53, v48
	v_fma_f32 v25, v45, v93, -v20
	v_fmac_f32_e32 v26, v46, v93
	ds_read2_b64 v[45:48], v76 offset0:128 offset1:224
	s_waitcnt lgkmcnt(1)
	v_mul_f32_e32 v20, v3, v92
	v_fma_f32 v20, v2, v91, -v20
	v_mul_f32_e32 v22, v2, v92
	s_waitcnt vmcnt(3)
	v_mul_f32_e32 v2, v1, v96
	v_fma_f32 v29, v0, v95, -v2
	v_mul_f32_e32 v30, v0, v96
	s_waitcnt lgkmcnt(0)
	v_mul_f32_e32 v0, v48, v98
	v_fmac_f32_e32 v22, v3, v91
	v_fmac_f32_e32 v30, v1, v95
	v_fma_f32 v36, v47, v97, -v0
	ds_read2_b64 v[0:3], v79 offset0:64 offset1:160
	v_mul_f32_e32 v37, v47, v98
	s_waitcnt vmcnt(1)
	v_mul_f32_e32 v56, v45, v102
	v_fmac_f32_e32 v37, v48, v97
	v_mul_f32_e32 v43, v46, v102
	v_fmac_f32_e32 v56, v46, v101
	ds_read2_b64 v[46:49], v82 offset0:64 offset1:160
	v_fma_f32 v55, v45, v101, -v43
	s_waitcnt lgkmcnt(1)
	v_mul_f32_e32 v43, v3, v100
	v_fma_f32 v43, v2, v99, -v43
	v_mul_f32_e32 v45, v2, v100
	v_mul_f32_e32 v2, v1, v104
	v_fma_f32 v91, v0, v103, -v2
	v_mul_f32_e32 v92, v0, v104
	s_waitcnt lgkmcnt(0)
	v_mul_f32_e32 v0, v49, v106
	v_fmac_f32_e32 v45, v3, v99
	v_fmac_f32_e32 v92, v1, v103
	v_fma_f32 v93, v48, v105, -v0
	v_mul_f32_e32 v94, v48, v106
	s_waitcnt vmcnt(0)
	v_mul_f32_e32 v48, v110, v47
	ds_read2_b64 v[0:3], v85 offset0:128 offset1:224
	v_mul_f32_e32 v95, v110, v46
	v_fmac_f32_e32 v94, v49, v105
	v_fma_f32 v53, v109, v46, -v48
	v_fmac_f32_e32 v95, v109, v47
	ds_read2_b64 v[46:49], v77 offset1:96
	s_waitcnt lgkmcnt(1)
	v_mul_f32_e32 v96, v108, v3
	v_fma_f32 v96, v107, v2, -v96
	v_mul_f32_e32 v97, v108, v2
	v_fmac_f32_e32 v97, v107, v3
	s_waitcnt lgkmcnt(0)
	v_add_f32_e32 v2, v47, v95
	v_add_f32_e32 v98, v2, v51
	v_sub_f32_e32 v99, v95, v51
	v_add_f32_e32 v2, v95, v51
	v_add_f32_e32 v3, v46, v53
	;; [unrolled: 1-line block ×5, first 2 shown]
	v_sub_f32_e32 v100, v53, v50
	v_add_f32_e32 v50, v96, v52
	v_fmac_f32_e32 v96, -0.5, v51
	v_add_f32_e32 v51, v97, v54
	v_add_f32_e32 v101, v51, v58
	v_add_f32_e32 v51, v54, v58
	v_fmac_f32_e32 v97, -0.5, v51
	v_sub_f32_e32 v102, v54, v58
	v_add_f32_e32 v54, v50, v57
	v_sub_f32_e32 v57, v52, v57
	v_mov_b32_e32 v51, v97
	v_mov_b32_e32 v50, v96
	v_fmac_f32_e32 v51, 0xbf5db3d7, v57
	v_fmac_f32_e32 v50, 0x3f5db3d7, v102
	v_mul_f32_e32 v58, 0x3f5db3d7, v51
	v_fma_f32 v104, -0.5, v3, v46
	v_fma_f32 v106, -0.5, v2, v47
	v_fmac_f32_e32 v58, 0.5, v50
	v_mul_f32_e32 v103, 0xbf5db3d7, v50
	v_mov_b32_e32 v50, 0xb40
	v_mov_b32_e32 v105, v104
	;; [unrolled: 1-line block ×3, first 2 shown]
	v_fmac_f32_e32 v103, 0.5, v51
	v_cndmask_b32_e32 v50, 0, v50, vcc
	v_fmac_f32_e32 v105, 0x3f5db3d7, v99
	v_fmac_f32_e32 v107, 0xbf5db3d7, v100
	v_add3_u32 v35, 0, v50, v35
	v_add_f32_e32 v2, v95, v54
	v_add_f32_e32 v3, v98, v101
	;; [unrolled: 1-line block ×4, first 2 shown]
	v_fmac_f32_e32 v96, 0xbf5db3d7, v102
	v_fmac_f32_e32 v97, 0x3f5db3d7, v57
	ds_read2_b64 v[50:53], v90 offset0:64 offset1:160
	s_waitcnt lgkmcnt(0)
	s_barrier
	ds_write2_b64 v35, v[2:3], v[46:47] offset1:60
	v_sub_f32_e32 v2, v95, v54
	v_mul_f32_e32 v54, -0.5, v96
	v_mul_f32_e32 v57, -0.5, v97
	v_fmac_f32_e32 v104, 0xbf5db3d7, v99
	v_fmac_f32_e32 v106, 0x3f5db3d7, v100
	;; [unrolled: 1-line block ×4, first 2 shown]
	v_sub_f32_e32 v3, v98, v101
	v_add_f32_e32 v46, v104, v54
	v_add_f32_e32 v47, v106, v57
	ds_write2_b64 v35, v[46:47], v[2:3] offset0:120 offset1:180
	v_sub_f32_e32 v2, v105, v58
	v_sub_f32_e32 v3, v107, v103
	;; [unrolled: 1-line block ×4, first 2 shown]
	v_add_u32_e32 v35, 0x400, v35
	v_add_f32_e32 v57, v59, v38
	ds_write2_b64 v35, v[2:3], v[46:47] offset0:112 offset1:172
	v_add_f32_e32 v2, v49, v94
	v_add_f32_e32 v3, v91, v59
	v_fmac_f32_e32 v91, -0.5, v57
	v_add_f32_e32 v57, v92, v111
	v_add_f32_e32 v35, v2, v113
	;; [unrolled: 1-line block ×4, first 2 shown]
	v_sub_f32_e32 v58, v111, v39
	v_add_f32_e32 v39, v111, v39
	v_fmac_f32_e32 v49, -0.5, v2
	v_add_f32_e32 v2, v48, v93
	v_fmac_f32_e32 v92, -0.5, v39
	v_add_f32_e32 v39, v3, v38
	v_mov_b32_e32 v3, v91
	v_add_f32_e32 v47, v2, v112
	v_add_f32_e32 v2, v93, v112
	v_sub_f32_e32 v38, v59, v38
	v_fmac_f32_e32 v3, 0x3f5db3d7, v58
	v_mov_b32_e32 v59, v92
	v_sub_f32_e32 v46, v94, v113
	v_fmac_f32_e32 v59, 0xbf5db3d7, v38
	v_mul_f32_e32 v94, 0xbf5db3d7, v3
	v_fma_f32 v48, -0.5, v2, v48
	v_sub_f32_e32 v54, v93, v112
	v_mul_f32_e32 v93, 0x3f5db3d7, v59
	v_fmac_f32_e32 v94, 0.5, v59
	v_mov_b32_e32 v59, v48
	v_mov_b32_e32 v95, v49
	v_fmac_f32_e32 v93, 0.5, v3
	v_lshlrev_b32_sdwa v3, v4, v14 dst_sel:DWORD dst_unused:UNUSED_PAD src0_sel:DWORD src1_sel:BYTE_0
	v_mul_u32_u24_e32 v4, 0xb40, v13
	v_fmac_f32_e32 v59, 0x3f5db3d7, v46
	v_fmac_f32_e32 v95, 0xbf5db3d7, v54
	v_add3_u32 v4, 0, v4, v3
	v_add_f32_e32 v2, v47, v39
	v_add_f32_e32 v3, v35, v57
	;; [unrolled: 1-line block ×4, first 2 shown]
	v_fmac_f32_e32 v91, 0xbf5db3d7, v58
	v_fmac_f32_e32 v92, 0x3f5db3d7, v38
	ds_write2_b64 v4, v[2:3], v[13:14] offset1:60
	v_sub_f32_e32 v3, v35, v57
	v_mul_f32_e32 v35, -0.5, v91
	v_mul_f32_e32 v38, -0.5, v92
	v_fmac_f32_e32 v48, 0xbf5db3d7, v46
	v_fmac_f32_e32 v49, 0x3f5db3d7, v54
	;; [unrolled: 1-line block ×4, first 2 shown]
	v_sub_f32_e32 v2, v47, v39
	v_add_f32_e32 v13, v48, v35
	v_add_f32_e32 v14, v49, v38
	ds_write2_b64 v4, v[13:14], v[2:3] offset0:120 offset1:180
	v_sub_f32_e32 v3, v49, v38
	v_sub_f32_e32 v2, v48, v35
	;; [unrolled: 1-line block ×4, first 2 shown]
	v_add_u32_e32 v4, 0x400, v4
	v_add_f32_e32 v39, v40, v32
	ds_write2_b64 v4, v[13:14], v[2:3] offset0:112 offset1:172
	v_add_f32_e32 v3, v50, v55
	v_add_f32_e32 v38, v43, v40
	v_fmac_f32_e32 v43, -0.5, v39
	v_add_f32_e32 v39, v45, v41
	v_add_f32_e32 v14, v3, v42
	;; [unrolled: 1-line block ×3, first 2 shown]
	v_sub_f32_e32 v35, v55, v42
	v_add_f32_e32 v39, v39, v33
	v_sub_f32_e32 v42, v41, v33
	v_add_f32_e32 v33, v41, v33
	v_fmac_f32_e32 v45, -0.5, v33
	v_add_f32_e32 v2, v51, v56
	v_add_f32_e32 v33, v38, v32
	v_sub_f32_e32 v32, v40, v32
	v_mov_b32_e32 v40, v45
	v_add_f32_e32 v4, v2, v44
	v_add_f32_e32 v2, v56, v44
	v_mov_b32_e32 v38, v43
	v_fmac_f32_e32 v40, 0xbf5db3d7, v32
	v_sub_f32_e32 v13, v56, v44
	v_fmac_f32_e32 v38, 0x3f5db3d7, v42
	v_mul_f32_e32 v41, 0x3f5db3d7, v40
	v_fma_f32 v44, -0.5, v3, v50
	v_fma_f32 v47, -0.5, v2, v51
	v_fmac_f32_e32 v41, 0.5, v38
	v_mul_f32_e32 v38, 0xbf5db3d7, v38
	v_mov_b32_e32 v46, v44
	v_mov_b32_e32 v48, v47
	v_fmac_f32_e32 v38, 0.5, v40
	v_fmac_f32_e32 v46, 0x3f5db3d7, v13
	v_fmac_f32_e32 v48, 0xbf5db3d7, v35
	v_add3_u32 v40, 0, v11, v12
	v_add_f32_e32 v2, v14, v33
	v_add_f32_e32 v3, v4, v39
	;; [unrolled: 1-line block ×4, first 2 shown]
	v_fmac_f32_e32 v43, 0xbf5db3d7, v42
	v_fmac_f32_e32 v45, 0x3f5db3d7, v32
	ds_write2_b64 v40, v[2:3], v[11:12] offset1:60
	v_sub_f32_e32 v3, v4, v39
	v_fmac_f32_e32 v44, 0xbf5db3d7, v13
	v_mul_f32_e32 v4, -0.5, v43
	v_mul_f32_e32 v13, -0.5, v45
	v_fmac_f32_e32 v47, 0x3f5db3d7, v35
	v_fmac_f32_e32 v4, 0x3f5db3d7, v45
	v_fmac_f32_e32 v13, 0xbf5db3d7, v43
	v_sub_f32_e32 v2, v14, v33
	v_add_f32_e32 v11, v44, v4
	v_add_f32_e32 v12, v47, v13
	ds_write2_b64 v40, v[11:12], v[2:3] offset0:120 offset1:180
	v_sub_f32_e32 v2, v46, v41
	v_sub_f32_e32 v3, v48, v38
	;; [unrolled: 1-line block ×4, first 2 shown]
	v_add_u32_e32 v4, 0x400, v40
	ds_write2_b64 v4, v[2:3], v[11:12] offset0:112 offset1:172
	v_add_f32_e32 v2, v53, v37
	v_add_f32_e32 v4, v2, v34
	;; [unrolled: 1-line block ×4, first 2 shown]
	v_fmac_f32_e32 v53, -0.5, v2
	v_add_f32_e32 v2, v52, v36
	v_add_f32_e32 v3, v29, v27
	v_fmac_f32_e32 v29, -0.5, v14
	v_add_f32_e32 v14, v30, v28
	v_add_f32_e32 v12, v2, v31
	v_add_f32_e32 v2, v36, v31
	v_sub_f32_e32 v13, v36, v31
	v_add_f32_e32 v14, v14, v24
	v_sub_f32_e32 v31, v28, v24
	v_add_f32_e32 v24, v28, v24
	v_fmac_f32_e32 v30, -0.5, v24
	v_add_f32_e32 v24, v3, v23
	v_sub_f32_e32 v23, v27, v23
	v_mov_b32_e32 v3, v29
	v_mov_b32_e32 v27, v30
	v_fmac_f32_e32 v3, 0x3f5db3d7, v31
	v_fmac_f32_e32 v27, 0xbf5db3d7, v23
	v_fma_f32 v33, -0.5, v2, v52
	v_sub_f32_e32 v11, v37, v34
	v_mul_f32_e32 v28, 0x3f5db3d7, v27
	v_mul_f32_e32 v32, 0xbf5db3d7, v3
	v_mov_b32_e32 v34, v33
	v_mov_b32_e32 v35, v53
	v_fmac_f32_e32 v28, 0.5, v3
	v_fmac_f32_e32 v32, 0.5, v27
	v_mul_u32_u24_e32 v3, 0xb40, v9
	v_lshlrev_b32_e32 v9, 3, v10
	v_fmac_f32_e32 v34, 0x3f5db3d7, v11
	v_fmac_f32_e32 v35, 0xbf5db3d7, v13
	v_add3_u32 v27, 0, v3, v9
	v_add_f32_e32 v2, v12, v24
	v_add_f32_e32 v3, v4, v14
	;; [unrolled: 1-line block ×4, first 2 shown]
	v_fmac_f32_e32 v29, 0xbf5db3d7, v31
	v_fmac_f32_e32 v30, 0x3f5db3d7, v23
	ds_write2_b64 v27, v[2:3], v[9:10] offset1:60
	v_sub_f32_e32 v3, v4, v14
	v_fmac_f32_e32 v33, 0xbf5db3d7, v11
	v_mul_f32_e32 v4, -0.5, v29
	v_mul_f32_e32 v11, -0.5, v30
	v_fmac_f32_e32 v53, 0x3f5db3d7, v13
	v_fmac_f32_e32 v4, 0x3f5db3d7, v30
	;; [unrolled: 1-line block ×3, first 2 shown]
	v_sub_f32_e32 v2, v12, v24
	v_add_f32_e32 v9, v33, v4
	v_add_f32_e32 v10, v53, v11
	ds_write2_b64 v27, v[9:10], v[2:3] offset0:120 offset1:180
	v_sub_f32_e32 v3, v53, v11
	v_sub_f32_e32 v2, v33, v4
	;; [unrolled: 1-line block ×4, first 2 shown]
	v_add_u32_e32 v4, 0x400, v27
	ds_write2_b64 v4, v[9:10], v[2:3] offset0:112 offset1:172
	v_add_f32_e32 v4, v17, v15
	v_add_f32_e32 v2, v1, v26
	;; [unrolled: 1-line block ×3, first 2 shown]
	v_fmac_f32_e32 v20, -0.5, v4
	v_add_f32_e32 v4, v22, v18
	v_add_f32_e32 v9, v2, v21
	;; [unrolled: 1-line block ×5, first 2 shown]
	v_fmac_f32_e32 v1, -0.5, v2
	v_add_f32_e32 v2, v0, v25
	v_fmac_f32_e32 v22, -0.5, v4
	v_add_f32_e32 v11, v2, v19
	v_add_f32_e32 v2, v25, v19
	v_sub_f32_e32 v14, v18, v16
	v_add_f32_e32 v16, v3, v15
	v_sub_f32_e32 v15, v17, v15
	v_mov_b32_e32 v3, v20
	v_mov_b32_e32 v4, v22
	v_fmac_f32_e32 v3, 0x3f5db3d7, v14
	v_fmac_f32_e32 v4, 0xbf5db3d7, v15
	v_fma_f32 v0, -0.5, v2, v0
	v_sub_f32_e32 v10, v26, v21
	v_sub_f32_e32 v12, v25, v19
	v_mul_f32_e32 v17, 0x3f5db3d7, v4
	v_mul_f32_e32 v18, 0xbf5db3d7, v3
	v_mov_b32_e32 v19, v0
	v_mov_b32_e32 v21, v1
	v_fmac_f32_e32 v17, 0.5, v3
	v_fmac_f32_e32 v18, 0.5, v4
	v_mul_u32_u24_e32 v3, 0xb40, v5
	v_lshlrev_b32_e32 v4, 3, v8
	v_fmac_f32_e32 v19, 0x3f5db3d7, v10
	v_fmac_f32_e32 v21, 0xbf5db3d7, v12
	v_add3_u32 v8, 0, v3, v4
	v_add_f32_e32 v2, v11, v16
	v_add_f32_e32 v3, v9, v13
	;; [unrolled: 1-line block ×4, first 2 shown]
	v_fmac_f32_e32 v20, 0xbf5db3d7, v14
	v_fmac_f32_e32 v22, 0x3f5db3d7, v15
	ds_write2_b64 v8, v[2:3], v[4:5] offset1:60
	v_sub_f32_e32 v3, v9, v13
	v_fmac_f32_e32 v0, 0xbf5db3d7, v10
	v_mul_f32_e32 v9, -0.5, v20
	v_mul_f32_e32 v10, -0.5, v22
	v_fmac_f32_e32 v1, 0x3f5db3d7, v12
	v_fmac_f32_e32 v9, 0x3f5db3d7, v22
	;; [unrolled: 1-line block ×3, first 2 shown]
	v_sub_f32_e32 v2, v11, v16
	v_add_f32_e32 v4, v0, v9
	v_add_f32_e32 v5, v1, v10
	ds_write2_b64 v8, v[4:5], v[2:3] offset0:120 offset1:180
	v_sub_f32_e32 v1, v1, v10
	v_sub_f32_e32 v0, v0, v9
	;; [unrolled: 1-line block ×4, first 2 shown]
	v_add_u32_e32 v4, 0x400, v8
	ds_write2_b64 v4, v[2:3], v[0:1] offset0:112 offset1:172
	v_add_co_u32_e32 v0, vcc, s12, v72
	v_addc_co_u32_e32 v1, vcc, v6, v73, vcc
	v_add_co_u32_e32 v4, vcc, s5, v0
	v_addc_co_u32_e32 v5, vcc, 0, v1, vcc
	s_waitcnt lgkmcnt(0)
	s_barrier
	global_load_dwordx2 v[16:17], v[4:5], off offset:240
	v_add_u32_e32 v2, 0xffffffb8, v62
	v_cmp_gt_u32_e32 vcc, s6, v62
	global_load_dwordx2 v[18:19], v[0:1], off offset:3760
	global_load_dwordx2 v[12:13], v[0:1], off offset:3568
	;; [unrolled: 1-line block ×3, first 2 shown]
	v_cndmask_b32_e32 v34, v2, v7, vcc
	v_mov_b32_e32 v35, v63
	s_movk_i32 s6, 0x2d83
	v_add_u32_e32 v7, 0x2a0, v62
	v_lshlrev_b64 v[2:3], 3, v[34:35]
	v_mul_u32_u24_sdwa v8, v7, s6 dst_sel:DWORD dst_unused:UNUSED_PAD src0_sel:WORD_0 src1_sel:DWORD
	v_lshrrev_b32_e32 v49, 22, v8
	v_add_co_u32_e32 v2, vcc, s12, v2
	v_mul_lo_u16_e32 v8, 0x168, v49
	v_addc_co_u32_e32 v3, vcc, v6, v3, vcc
	v_sub_u16_e32 v8, v7, v8
	v_lshlrev_b32_e32 v50, 3, v8
	global_load_dwordx2 v[22:23], v[2:3], off offset:2800
	global_load_dwordx2 v[24:25], v50, s[12:13] offset:2800
	global_load_dwordx2 v[26:27], v[4:5], off offset:432
	v_mul_u32_u24_sdwa v2, v74, s6 dst_sel:DWORD dst_unused:UNUSED_PAD src0_sel:WORD_0 src1_sel:DWORD
	v_lshrrev_b32_e32 v2, 22, v2
	v_mul_lo_u16_e32 v2, 0x168, v2
	v_sub_u16_e32 v2, v74, v2
	v_add_u32_e32 v3, 0x360, v62
	v_lshlrev_b32_e32 v51, 3, v2
	v_mul_u32_u24_sdwa v2, v3, s6 dst_sel:DWORD dst_unused:UNUSED_PAD src0_sel:WORD_0 src1_sel:DWORD
	v_lshrrev_b32_e32 v2, 22, v2
	v_mul_lo_u16_e32 v2, 0x168, v2
	v_sub_u16_e32 v2, v3, v2
	v_add_u32_e32 v3, 0x3c0, v62
	v_mul_u32_u24_sdwa v8, v3, s6 dst_sel:DWORD dst_unused:UNUSED_PAD src0_sel:WORD_0 src1_sel:DWORD
	v_lshrrev_b32_e32 v8, 22, v8
	v_lshlrev_b32_e32 v52, 3, v2
	v_mul_lo_u16_e32 v2, 0x168, v8
	v_sub_u16_e32 v2, v3, v2
	v_lshlrev_b32_e32 v53, 3, v2
	v_add_u32_e32 v2, 0x420, v62
	v_mul_u32_u24_sdwa v3, v2, s6 dst_sel:DWORD dst_unused:UNUSED_PAD src0_sel:WORD_0 src1_sel:DWORD
	v_lshrrev_b32_e32 v54, 22, v3
	v_mul_lo_u16_e32 v3, 0x168, v54
	global_load_dwordx2 v[28:29], v51, s[12:13] offset:2800
	v_sub_u16_e32 v2, v2, v3
	v_lshlrev_b32_e32 v55, 3, v2
	v_mul_u32_u24_sdwa v2, v75, s6 dst_sel:DWORD dst_unused:UNUSED_PAD src0_sel:WORD_0 src1_sel:DWORD
	v_lshrrev_b32_e32 v2, 22, v2
	global_load_dwordx2 v[30:31], v52, s[12:13] offset:2800
	global_load_dwordx2 v[32:33], v53, s[12:13] offset:2800
	;; [unrolled: 1-line block ×3, first 2 shown]
	v_mul_lo_u16_e32 v2, 0x168, v2
	v_sub_u16_e32 v2, v75, v2
	v_lshlrev_b32_e32 v56, 3, v2
	v_add_u32_e32 v2, 0x4e0, v62
	v_mul_u32_u24_sdwa v3, v2, s6 dst_sel:DWORD dst_unused:UNUSED_PAD src0_sel:WORD_0 src1_sel:DWORD
	v_lshrrev_b32_e32 v3, 22, v3
	v_mul_lo_u16_e32 v3, 0x168, v3
	v_sub_u16_e32 v2, v2, v3
	v_lshlrev_b32_e32 v57, 3, v2
	v_add_u32_e32 v2, 0x540, v62
	v_mul_u32_u24_sdwa v3, v2, s6 dst_sel:DWORD dst_unused:UNUSED_PAD src0_sel:WORD_0 src1_sel:DWORD
	global_load_dwordx2 v[37:38], v56, s[12:13] offset:2800
	global_load_dwordx2 v[39:40], v57, s[12:13] offset:2800
	v_lshrrev_b32_e32 v3, 22, v3
	v_mul_lo_u16_e32 v3, 0x168, v3
	v_sub_u16_e32 v2, v2, v3
	v_lshlrev_b32_e32 v58, 3, v2
	global_load_dwordx2 v[41:42], v58, s[12:13] offset:2800
	v_add_co_u32_e32 v2, vcc, s12, v70
	v_addc_co_u32_e32 v3, vcc, v6, v71, vcc
	global_load_dwordx2 v[43:44], v[2:3], off offset:2800
	ds_read2_b64 v[8:11], v84 offset1:96
	s_movk_i32 s6, 0x47
	v_cmp_lt_u32_e32 vcc, s6, v62
	s_waitcnt vmcnt(14) lgkmcnt(0)
	v_mul_f32_e32 v48, v10, v17
	v_fmac_f32_e32 v48, v11, v16
	s_waitcnt vmcnt(12)
	v_mul_f32_e32 v14, v13, v9
	v_mul_f32_e32 v46, v13, v8
	v_fma_f32 v45, v12, v8, -v14
	v_fmac_f32_e32 v46, v12, v9
	ds_read2_b64 v[12:15], v80 offset0:64 offset1:160
	v_mul_f32_e32 v8, v11, v17
	v_fma_f32 v47, v10, v16, -v8
	s_waitcnt vmcnt(11) lgkmcnt(0)
	v_mul_f32_e32 v72, v14, v21
	v_fmac_f32_e32 v72, v15, v20
	s_waitcnt vmcnt(10)
	v_mul_f32_e32 v8, v13, v23
	v_fma_f32 v59, v12, v22, -v8
	ds_read2_b64 v[8:11], v89 offset0:128 offset1:224
	v_mul_f32_e32 v70, v12, v23
	v_mul_f32_e32 v12, v15, v21
	v_fma_f32 v71, v14, v20, -v12
	v_fmac_f32_e32 v70, v13, v22
	s_waitcnt lgkmcnt(0)
	v_mul_f32_e32 v12, v9, v19
	v_fma_f32 v73, v8, v18, -v12
	ds_read2_b64 v[12:15], v83 offset0:64 offset1:160
	v_mul_f32_e32 v74, v8, v19
	s_waitcnt vmcnt(8)
	v_mul_f32_e32 v8, v11, v27
	v_fma_f32 v75, v10, v26, -v8
	v_mul_f32_e32 v91, v10, v27
	s_waitcnt lgkmcnt(0)
	v_mul_f32_e32 v8, v13, v25
	v_fmac_f32_e32 v74, v9, v18
	v_fmac_f32_e32 v91, v11, v26
	v_fma_f32 v92, v12, v24, -v8
	ds_read2_b64 v[8:11], v78 offset1:96
	v_mul_f32_e32 v93, v12, v25
	v_fmac_f32_e32 v93, v13, v24
	s_waitcnt vmcnt(7)
	v_mul_f32_e32 v12, v15, v29
	v_fma_f32 v94, v14, v28, -v12
	v_mul_f32_e32 v95, v14, v29
	s_waitcnt vmcnt(6) lgkmcnt(0)
	v_mul_f32_e32 v12, v9, v31
	v_fmac_f32_e32 v95, v15, v28
	v_fma_f32 v96, v8, v30, -v12
	ds_read2_b64 v[12:15], v87 offset0:64 offset1:160
	v_mul_f32_e32 v97, v8, v31
	s_waitcnt vmcnt(5)
	v_mul_f32_e32 v8, v11, v33
	v_fma_f32 v98, v10, v32, -v8
	v_mul_f32_e32 v99, v10, v33
	s_waitcnt vmcnt(4) lgkmcnt(0)
	v_mul_f32_e32 v8, v13, v36
	v_fmac_f32_e32 v97, v9, v30
	v_fmac_f32_e32 v99, v11, v32
	v_fma_f32 v100, v12, v35, -v8
	ds_read2_b64 v[8:11], v81 offset0:128 offset1:224
	v_mul_f32_e32 v101, v12, v36
	s_waitcnt vmcnt(3)
	v_mul_f32_e32 v12, v15, v38
	v_fma_f32 v102, v14, v37, -v12
	v_mul_f32_e32 v103, v14, v38
	s_waitcnt vmcnt(2) lgkmcnt(0)
	v_mul_f32_e32 v12, v9, v40
	v_fmac_f32_e32 v101, v13, v35
	v_fmac_f32_e32 v103, v15, v37
	v_fma_f32 v104, v8, v39, -v12
	ds_read2_b64 v[12:15], v86 offset0:64 offset1:160
	v_mul_f32_e32 v105, v8, v40
	s_waitcnt vmcnt(1)
	v_mul_f32_e32 v8, v11, v42
	v_mul_f32_e32 v107, v10, v42
	v_fmac_f32_e32 v105, v9, v39
	v_fma_f32 v106, v10, v41, -v8
	v_fmac_f32_e32 v107, v11, v41
	ds_read2_b64 v[8:11], v77 offset1:96
	s_waitcnt vmcnt(0) lgkmcnt(1)
	v_mul_f32_e32 v16, v44, v15
	v_fma_f32 v16, v43, v14, -v16
	v_mul_f32_e32 v14, v44, v14
	v_fmac_f32_e32 v14, v43, v15
	s_waitcnt lgkmcnt(0)
	v_sub_f32_e32 v35, v8, v16
	v_sub_f32_e32 v36, v9, v14
	ds_read2_b64 v[14:17], v90 offset0:64 offset1:160
	v_sub_f32_e32 v37, v10, v45
	v_sub_f32_e32 v38, v11, v46
	v_fma_f32 v39, v8, 2.0, -v35
	v_fma_f32 v40, v9, 2.0, -v36
	s_waitcnt lgkmcnt(0)
	v_sub_f32_e32 v44, v15, v48
	v_fma_f32 v41, v10, 2.0, -v37
	v_fma_f32 v42, v11, 2.0, -v38
	v_sub_f32_e32 v43, v14, v47
	v_add_u32_e32 v45, 0xc00, v77
	v_fma_f32 v15, v15, 2.0, -v44
	ds_read2_b64 v[8:11], v85 offset0:128 offset1:224
	ds_read2_b64 v[18:21], v79 offset0:64 offset1:160
	ds_read2_b64 v[22:25], v88 offset1:96
	ds_read2_b64 v[26:29], v82 offset0:64 offset1:160
	ds_read2_b64 v[30:33], v76 offset0:128 offset1:224
	s_waitcnt lgkmcnt(0)
	s_barrier
	ds_write2_b64 v45, v[37:38], v[43:44] offset0:72 offset1:168
	v_fma_f32 v14, v14, 2.0, -v43
	ds_write2_b64 v77, v[39:40], v[41:42] offset1:96
	ds_write2_b64 v90, v[14:15], v[35:36] offset0:64 offset1:232
	v_mov_b32_e32 v15, 0x1680
	v_sub_f32_e32 v37, v16, v59
	v_sub_f32_e32 v38, v17, v70
	v_lshlrev_b32_e32 v14, 3, v34
	v_cndmask_b32_e32 v15, 0, v15, vcc
	v_fma_f32 v16, v16, 2.0, -v37
	v_fma_f32 v17, v17, 2.0, -v38
	v_sub_f32_e32 v43, v8, v71
	v_sub_f32_e32 v44, v9, v72
	;; [unrolled: 1-line block ×4, first 2 shown]
	v_add3_u32 v14, 0, v15, v14
	v_fma_f32 v8, v8, 2.0, -v43
	v_fma_f32 v9, v9, 2.0, -v44
	;; [unrolled: 1-line block ×4, first 2 shown]
	ds_write_b64 v14, v[16:17]
	ds_write_b64 v14, v[37:38] offset:2880
	v_add_u32_e32 v14, 0x1400, v77
	ds_write2_b64 v14, v[8:9], v[10:11] offset0:104 offset1:200
	v_sub_f32_e32 v8, v18, v75
	v_sub_f32_e32 v9, v19, v91
	v_add_u32_e32 v59, 0x2400, v77
	v_sub_f32_e32 v10, v20, v92
	v_sub_f32_e32 v11, v21, v93
	v_fma_f32 v14, v18, 2.0, -v8
	ds_write2_b64 v59, v[45:46], v[8:9] offset0:48 offset1:144
	v_mul_u32_u24_e32 v8, 0x1680, v49
	v_fma_f32 v15, v19, 2.0, -v9
	v_fma_f32 v16, v20, 2.0, -v10
	;; [unrolled: 1-line block ×3, first 2 shown]
	v_sub_f32_e32 v18, v22, v94
	v_sub_f32_e32 v19, v23, v95
	v_add3_u32 v8, 0, v8, v50
	v_sub_f32_e32 v20, v24, v96
	v_sub_f32_e32 v21, v25, v97
	v_fma_f32 v22, v22, 2.0, -v18
	v_fma_f32 v23, v23, 2.0, -v19
	ds_write2_b64 v82, v[14:15], v[43:44] offset0:40 offset1:208
	ds_write_b64 v8, v[16:17]
	ds_write_b64 v8, v[10:11] offset:2880
	v_add_u32_e32 v8, 0, v51
	v_fma_f32 v24, v24, 2.0, -v20
	v_fma_f32 v25, v25, 2.0, -v21
	v_sub_f32_e32 v34, v26, v98
	v_sub_f32_e32 v35, v27, v99
	ds_write_b64 v8, v[22:23] offset:11520
	ds_write_b64 v8, v[18:19] offset:14400
	v_add_u32_e32 v8, 0, v52
	v_fma_f32 v26, v26, 2.0, -v34
	v_fma_f32 v27, v27, 2.0, -v35
	ds_write_b64 v8, v[24:25] offset:11520
	ds_write_b64 v8, v[20:21] offset:14400
	v_add_u32_e32 v8, 0, v53
	v_sub_f32_e32 v36, v28, v100
	v_sub_f32_e32 v37, v29, v101
	ds_write_b64 v8, v[26:27] offset:11520
	ds_write_b64 v8, v[34:35] offset:14400
	v_mul_u32_u24_e32 v8, 0x1680, v54
	v_fma_f32 v28, v28, 2.0, -v36
	v_fma_f32 v29, v29, 2.0, -v37
	v_sub_f32_e32 v38, v30, v102
	v_sub_f32_e32 v39, v31, v103
	v_add3_u32 v8, 0, v8, v55
	v_sub_f32_e32 v40, v32, v104
	v_sub_f32_e32 v41, v33, v105
	v_fma_f32 v30, v30, 2.0, -v38
	v_fma_f32 v31, v31, 2.0, -v39
	ds_write_b64 v8, v[28:29]
	ds_write_b64 v8, v[36:37] offset:2880
	v_add_u32_e32 v8, 0, v56
	v_fma_f32 v32, v32, 2.0, -v40
	v_fma_f32 v33, v33, 2.0, -v41
	v_sub_f32_e32 v47, v12, v106
	v_sub_f32_e32 v48, v13, v107
	ds_write_b64 v8, v[30:31] offset:17280
	ds_write_b64 v8, v[38:39] offset:20160
	v_add_u32_e32 v8, 0, v57
	v_fma_f32 v12, v12, 2.0, -v47
	v_fma_f32 v13, v13, 2.0, -v48
	ds_write_b64 v8, v[32:33] offset:17280
	ds_write_b64 v8, v[40:41] offset:20160
	v_add_u32_e32 v8, 0, v58
	ds_write_b64 v8, v[12:13] offset:17280
	ds_write_b64 v8, v[47:48] offset:20160
	s_waitcnt lgkmcnt(0)
	s_barrier
	global_load_dwordx2 v[11:12], v[4:5], off offset:2352
	global_load_dwordx2 v[15:16], v[4:5], off offset:3120
	;; [unrolled: 1-line block ×3, first 2 shown]
	v_add_co_u32_e32 v25, vcc, s4, v0
	v_addc_co_u32_e32 v26, vcc, 0, v1, vcc
	v_subrev_u32_e32 v8, 48, v62
	v_cmp_gt_u32_e32 vcc, 48, v62
	v_cndmask_b32_e32 v27, v8, v7, vcc
	v_mov_b32_e32 v28, v63
	v_lshlrev_b64 v[7:8], 3, v[27:28]
	global_load_dwordx2 v[19:20], v[25:26], off offset:560
	global_load_dwordx2 v[21:22], v[25:26], off offset:1328
	;; [unrolled: 1-line block ×3, first 2 shown]
	v_add_co_u32_e32 v7, vcc, s12, v7
	v_addc_co_u32_e32 v8, vcc, v6, v8, vcc
	v_add_co_u32_e32 v7, vcc, s5, v7
	v_addc_co_u32_e32 v8, vcc, 0, v8, vcc
	global_load_dwordx2 v[28:29], v[7:8], off offset:1584
	global_load_dwordx2 v[30:31], v[4:5], off offset:2736
	;; [unrolled: 1-line block ×3, first 2 shown]
	v_add_co_u32_e32 v7, vcc, s5, v2
	v_addc_co_u32_e32 v8, vcc, 0, v3, vcc
	global_load_dwordx2 v[34:35], v[7:8], off offset:1584
	global_load_dwordx2 v[36:37], v[4:5], off offset:3504
	;; [unrolled: 1-line block ×6, first 2 shown]
	ds_read2_b64 v[7:10], v84 offset1:96
	v_cmp_lt_u32_e32 vcc, 47, v62
	s_movk_i32 s5, 0x3000
	s_waitcnt vmcnt(14) lgkmcnt(0)
	v_mul_f32_e32 v4, v12, v8
	v_mul_f32_e32 v47, v12, v7
	v_fma_f32 v46, v11, v7, -v4
	v_fmac_f32_e32 v47, v11, v8
	ds_read2_b64 v[11:14], v80 offset0:64 offset1:160
	s_waitcnt vmcnt(13)
	v_mul_f32_e32 v4, v16, v10
	v_mul_f32_e32 v49, v16, v9
	v_fma_f32 v48, v15, v9, -v4
	v_fmac_f32_e32 v49, v15, v10
	s_waitcnt vmcnt(12) lgkmcnt(0)
	v_mul_f32_e32 v4, v12, v18
	ds_read2_b64 v[7:10], v89 offset0:128 offset1:224
	v_fma_f32 v50, v11, v17, -v4
	v_mul_f32_e32 v18, v11, v18
	s_waitcnt vmcnt(11)
	v_mul_f32_e32 v4, v14, v20
	v_mul_f32_e32 v20, v13, v20
	v_fmac_f32_e32 v18, v12, v17
	v_fma_f32 v17, v13, v19, -v4
	v_fmac_f32_e32 v20, v14, v19
	ds_read2_b64 v[11:14], v83 offset0:64 offset1:160
	s_waitcnt vmcnt(10) lgkmcnt(1)
	v_mul_f32_e32 v4, v8, v22
	v_fma_f32 v19, v7, v21, -v4
	v_mul_f32_e32 v22, v7, v22
	s_waitcnt vmcnt(9)
	v_mul_f32_e32 v4, v10, v24
	v_mul_f32_e32 v24, v9, v24
	v_fmac_f32_e32 v22, v8, v21
	v_fma_f32 v21, v9, v23, -v4
	v_fmac_f32_e32 v24, v10, v23
	s_waitcnt vmcnt(8) lgkmcnt(0)
	v_mul_f32_e32 v4, v12, v29
	ds_read2_b64 v[7:10], v78 offset1:96
	v_fma_f32 v52, v11, v28, -v4
	v_mul_f32_e32 v53, v11, v29
	s_waitcnt vmcnt(6)
	v_mul_f32_e32 v4, v14, v33
	v_mul_f32_e32 v55, v13, v33
	v_fmac_f32_e32 v53, v12, v28
	v_fma_f32 v54, v13, v32, -v4
	v_fmac_f32_e32 v55, v14, v32
	ds_read2_b64 v[11:14], v87 offset0:64 offset1:160
	s_waitcnt lgkmcnt(1)
	v_mul_f32_e32 v4, v8, v31
	v_fma_f32 v56, v7, v30, -v4
	v_mul_f32_e32 v57, v7, v31
	s_waitcnt vmcnt(4)
	v_mul_f32_e32 v4, v10, v37
	v_mul_f32_e32 v70, v9, v37
	v_fmac_f32_e32 v57, v8, v30
	v_fma_f32 v58, v9, v36, -v4
	v_fmac_f32_e32 v70, v10, v36
	s_waitcnt vmcnt(3) lgkmcnt(0)
	v_mul_f32_e32 v4, v12, v39
	ds_read2_b64 v[7:10], v81 offset0:128 offset1:224
	v_fma_f32 v71, v11, v38, -v4
	v_mul_f32_e32 v72, v11, v39
	s_waitcnt vmcnt(1)
	v_mul_f32_e32 v4, v14, v43
	v_mul_f32_e32 v74, v13, v43
	v_fmac_f32_e32 v72, v12, v38
	v_fma_f32 v73, v13, v42, -v4
	v_fmac_f32_e32 v74, v14, v42
	ds_read2_b64 v[11:14], v86 offset0:64 offset1:160
	s_waitcnt lgkmcnt(1)
	v_mul_f32_e32 v4, v8, v41
	v_fma_f32 v75, v7, v40, -v4
	v_mul_f32_e32 v91, v7, v41
	s_waitcnt vmcnt(0)
	v_mul_f32_e32 v4, v10, v45
	v_mul_f32_e32 v93, v9, v45
	v_fmac_f32_e32 v91, v8, v40
	v_fma_f32 v92, v9, v44, -v4
	v_fmac_f32_e32 v93, v10, v44
	ds_read2_b64 v[7:10], v77 offset1:96
	s_waitcnt lgkmcnt(1)
	v_mul_f32_e32 v4, v35, v14
	v_mul_f32_e32 v5, v35, v13
	v_fma_f32 v4, v34, v13, -v4
	v_fmac_f32_e32 v5, v34, v14
	ds_read2_b64 v[13:16], v90 offset0:64 offset1:160
	s_waitcnt lgkmcnt(1)
	v_sub_f32_e32 v4, v7, v4
	v_sub_f32_e32 v5, v8, v5
	;; [unrolled: 1-line block ×4, first 2 shown]
	v_fma_f32 v30, v7, 2.0, -v4
	v_fma_f32 v31, v8, 2.0, -v5
	;; [unrolled: 1-line block ×4, first 2 shown]
	s_waitcnt lgkmcnt(0)
	v_sub_f32_e32 v34, v13, v48
	v_sub_f32_e32 v35, v14, v49
	;; [unrolled: 1-line block ×4, first 2 shown]
	ds_read2_b64 v[7:10], v85 offset0:128 offset1:224
	v_fma_f32 v38, v13, 2.0, -v34
	v_fma_f32 v39, v14, 2.0, -v35
	;; [unrolled: 1-line block ×4, first 2 shown]
	ds_read2_b64 v[13:16], v79 offset0:64 offset1:160
	s_waitcnt lgkmcnt(1)
	v_sub_f32_e32 v42, v7, v17
	v_sub_f32_e32 v43, v8, v20
	;; [unrolled: 1-line block ×4, first 2 shown]
	v_fma_f32 v46, v7, 2.0, -v42
	v_fma_f32 v47, v8, 2.0, -v43
	v_fma_f32 v48, v9, 2.0, -v44
	v_fma_f32 v49, v10, 2.0, -v45
	s_waitcnt lgkmcnt(0)
	v_sub_f32_e32 v50, v13, v21
	v_sub_f32_e32 v51, v14, v24
	ds_read2_b64 v[7:10], v88 offset1:96
	ds_read2_b64 v[17:20], v82 offset0:64 offset1:160
	ds_read2_b64 v[21:24], v76 offset0:128 offset1:224
	s_waitcnt lgkmcnt(0)
	s_barrier
	ds_write2_b64 v59, v[44:45], v[50:51] offset0:48 offset1:144
	v_fma_f32 v13, v13, 2.0, -v50
	v_fma_f32 v14, v14, 2.0, -v51
	ds_write2_b64 v77, v[30:31], v[32:33] offset1:96
	ds_write2_b64 v88, v[28:29], v[34:35] offset0:48 offset1:144
	ds_write2_b64 v90, v[38:39], v[40:41] offset0:64 offset1:160
	;; [unrolled: 1-line block ×5, first 2 shown]
	v_mov_b32_e32 v5, 0x2d00
	v_sub_f32_e32 v44, v15, v52
	v_sub_f32_e32 v45, v16, v53
	v_lshlrev_b32_e32 v4, 3, v27
	v_cndmask_b32_e32 v5, 0, v5, vcc
	v_fma_f32 v15, v15, 2.0, -v44
	v_fma_f32 v16, v16, 2.0, -v45
	v_sub_f32_e32 v50, v7, v54
	v_sub_f32_e32 v51, v8, v55
	;; [unrolled: 1-line block ×4, first 2 shown]
	v_add3_u32 v4, 0, v5, v4
	v_fma_f32 v7, v7, 2.0, -v50
	v_fma_f32 v8, v8, 2.0, -v51
	;; [unrolled: 1-line block ×4, first 2 shown]
	ds_write_b64 v4, v[15:16]
	ds_write_b64 v4, v[44:45] offset:5760
	v_add_u32_e32 v4, 0x2c00, v77
	ds_write2_b64 v4, v[7:8], v[9:10] offset0:80 offset1:176
	v_sub_f32_e32 v4, v17, v58
	v_sub_f32_e32 v5, v18, v70
	;; [unrolled: 1-line block ×4, first 2 shown]
	v_fma_f32 v9, v17, 2.0, -v4
	v_fma_f32 v10, v18, 2.0, -v5
	v_sub_f32_e32 v15, v21, v73
	v_sub_f32_e32 v16, v22, v74
	;; [unrolled: 1-line block ×4, first 2 shown]
	v_fma_f32 v13, v19, 2.0, -v7
	v_fma_f32 v14, v20, 2.0, -v8
	;; [unrolled: 1-line block ×6, first 2 shown]
	v_sub_f32_e32 v23, v11, v92
	v_sub_f32_e32 v24, v12, v93
	v_fma_f32 v11, v11, 2.0, -v23
	v_fma_f32 v12, v12, 2.0, -v24
	ds_write2_b64 v78, v[52:53], v[4:5] offset1:96
	ds_write2_b64 v84, v[9:10], v[13:14] offset0:144 offset1:240
	ds_write2_b64 v87, v[7:8], v[15:16] offset0:64 offset1:160
	;; [unrolled: 1-line block ×5, first 2 shown]
	s_waitcnt lgkmcnt(0)
	s_barrier
	global_load_dwordx2 v[4:5], v[25:26], off offset:4016
	v_add_co_u32_e32 v7, vcc, s5, v0
	v_addc_co_u32_e32 v8, vcc, 0, v1, vcc
	global_load_dwordx2 v[9:10], v[7:8], off offset:688
	global_load_dwordx2 v[11:12], v[7:8], off offset:1456
	global_load_dwordx2 v[13:14], v[7:8], off offset:2224
	global_load_dwordx2 v[15:16], v[7:8], off offset:2992
	s_movk_i32 s5, 0x4000
	v_add_co_u32_e32 v17, vcc, s5, v0
	v_addc_co_u32_e32 v18, vcc, 0, v1, vcc
	global_load_dwordx2 v[19:20], v[7:8], off offset:3760
	global_load_dwordx2 v[21:22], v[17:18], off offset:432
	v_add_co_u32_e32 v7, vcc, s12, v66
	v_addc_co_u32_e32 v8, vcc, v6, v67, vcc
	v_add_co_u32_e32 v7, vcc, s4, v7
	v_addc_co_u32_e32 v8, vcc, 0, v8, vcc
	global_load_dwordx2 v[23:24], v[7:8], off offset:3248
	global_load_dwordx2 v[25:26], v[17:18], off offset:1968
	;; [unrolled: 1-line block ×4, first 2 shown]
	v_add_co_u32_e32 v7, vcc, s12, v68
	v_addc_co_u32_e32 v8, vcc, v6, v69, vcc
	v_add_co_u32_e32 v6, vcc, s4, v7
	s_movk_i32 s5, 0x5000
	v_addc_co_u32_e32 v7, vcc, 0, v8, vcc
	global_load_dwordx2 v[17:18], v[6:7], off offset:3248
	v_add_co_u32_e32 v0, vcc, s5, v0
	v_addc_co_u32_e32 v1, vcc, 0, v1, vcc
	global_load_dwordx2 v[31:32], v[0:1], off offset:944
	global_load_dwordx2 v[33:34], v[0:1], off offset:1712
	v_add_co_u32_e32 v0, vcc, s4, v2
	v_addc_co_u32_e32 v1, vcc, 0, v3, vcc
	global_load_dwordx2 v[35:36], v[0:1], off offset:3248
	ds_read2_b64 v[0:3], v84 offset1:96
	s_waitcnt vmcnt(14) lgkmcnt(0)
	v_mul_f32_e32 v6, v5, v1
	v_mul_f32_e32 v37, v5, v0
	v_fma_f32 v8, v4, v0, -v6
	v_fmac_f32_e32 v37, v4, v1
	ds_read2_b64 v[4:7], v80 offset0:64 offset1:160
	s_waitcnt vmcnt(13)
	v_mul_f32_e32 v0, v10, v3
	v_fma_f32 v38, v9, v2, -v0
	v_mul_f32_e32 v39, v10, v2
	v_fmac_f32_e32 v39, v9, v3
	s_waitcnt vmcnt(12) lgkmcnt(0)
	v_mul_f32_e32 v0, v5, v12
	v_fma_f32 v40, v4, v11, -v0
	ds_read2_b64 v[0:3], v89 offset0:128 offset1:224
	v_mul_f32_e32 v41, v4, v12
	s_waitcnt vmcnt(11)
	v_mul_f32_e32 v4, v7, v14
	v_fma_f32 v42, v6, v13, -v4
	v_mul_f32_e32 v43, v6, v14
	s_waitcnt vmcnt(10) lgkmcnt(0)
	v_mul_f32_e32 v4, v1, v16
	v_fmac_f32_e32 v41, v5, v11
	v_fmac_f32_e32 v43, v7, v13
	v_fma_f32 v44, v0, v15, -v4
	ds_read2_b64 v[4:7], v83 offset0:64 offset1:160
	v_mul_f32_e32 v45, v0, v16
	s_waitcnt vmcnt(9)
	v_mul_f32_e32 v0, v3, v20
	v_fma_f32 v46, v2, v19, -v0
	v_mul_f32_e32 v47, v2, v20
	s_waitcnt vmcnt(8) lgkmcnt(0)
	v_mul_f32_e32 v0, v5, v22
	v_fmac_f32_e32 v45, v1, v15
	v_fmac_f32_e32 v47, v3, v19
	v_fma_f32 v48, v4, v21, -v0
	ds_read2_b64 v[0:3], v78 offset1:96
	v_mul_f32_e32 v49, v4, v22
	s_waitcnt vmcnt(7)
	v_mul_f32_e32 v4, v7, v24
	v_fma_f32 v50, v6, v23, -v4
	v_mul_f32_e32 v51, v6, v24
	s_waitcnt vmcnt(6) lgkmcnt(0)
	v_mul_f32_e32 v4, v1, v26
	v_fmac_f32_e32 v49, v5, v21
	v_fmac_f32_e32 v51, v7, v23
	v_fma_f32 v52, v0, v25, -v4
	ds_read2_b64 v[4:7], v87 offset0:64 offset1:160
	v_mul_f32_e32 v53, v0, v26
	s_waitcnt vmcnt(4)
	v_mul_f32_e32 v0, v3, v30
	v_fma_f32 v54, v2, v29, -v0
	v_mul_f32_e32 v55, v2, v30
	s_waitcnt lgkmcnt(0)
	v_mul_f32_e32 v0, v5, v28
	v_fmac_f32_e32 v53, v1, v25
	v_fmac_f32_e32 v55, v3, v29
	v_fma_f32 v56, v4, v27, -v0
	ds_read2_b64 v[0:3], v81 offset0:128 offset1:224
	v_mul_f32_e32 v57, v4, v28
	s_waitcnt vmcnt(3)
	v_mul_f32_e32 v4, v7, v18
	v_fma_f32 v58, v6, v17, -v4
	v_mul_f32_e32 v59, v6, v18
	s_waitcnt vmcnt(2) lgkmcnt(0)
	v_mul_f32_e32 v4, v1, v32
	v_fmac_f32_e32 v57, v5, v27
	v_fmac_f32_e32 v59, v7, v17
	v_fma_f32 v66, v0, v31, -v4
	ds_read2_b64 v[4:7], v86 offset0:64 offset1:160
	v_mul_f32_e32 v67, v0, v32
	s_waitcnt vmcnt(1)
	v_mul_f32_e32 v0, v3, v34
	v_mul_f32_e32 v34, v2, v34
	v_fmac_f32_e32 v67, v1, v31
	v_fma_f32 v68, v2, v33, -v0
	v_fmac_f32_e32 v34, v3, v33
	ds_read2_b64 v[0:3], v77 offset1:96
	s_waitcnt vmcnt(0) lgkmcnt(1)
	v_mul_f32_e32 v9, v36, v7
	v_fma_f32 v9, v35, v6, -v9
	v_mul_f32_e32 v6, v36, v6
	v_fmac_f32_e32 v6, v35, v7
	s_waitcnt lgkmcnt(0)
	v_sub_f32_e32 v26, v0, v9
	v_sub_f32_e32 v27, v1, v6
	;; [unrolled: 1-line block ×4, first 2 shown]
	v_fma_f32 v30, v0, 2.0, -v26
	v_fma_f32 v31, v1, 2.0, -v27
	;; [unrolled: 1-line block ×4, first 2 shown]
	ds_read2_b64 v[0:3], v90 offset0:64 offset1:160
	ds_read2_b64 v[6:9], v85 offset0:128 offset1:224
	;; [unrolled: 1-line block ×3, first 2 shown]
	ds_read2_b64 v[14:17], v88 offset1:96
	ds_read2_b64 v[18:21], v82 offset0:64 offset1:160
	ds_read2_b64 v[22:25], v76 offset0:128 offset1:224
	s_waitcnt lgkmcnt(0)
	s_barrier
	ds_write2_b64 v77, v[30:31], v[32:33] offset1:96
	v_sub_f32_e32 v30, v0, v38
	v_sub_f32_e32 v31, v1, v39
	ds_write2_b64 v84, v[28:29], v[30:31] offset1:96
	v_sub_f32_e32 v28, v2, v40
	v_sub_f32_e32 v29, v3, v41
	v_fma_f32 v0, v0, 2.0, -v30
	v_fma_f32 v1, v1, 2.0, -v31
	;; [unrolled: 1-line block ×4, first 2 shown]
	ds_write2_b64 v90, v[0:1], v[2:3] offset0:64 offset1:160
	v_sub_f32_e32 v0, v6, v42
	v_sub_f32_e32 v1, v7, v43
	;; [unrolled: 1-line block ×4, first 2 shown]
	ds_write2_b64 v80, v[28:29], v[0:1] offset0:64 offset1:160
	v_fma_f32 v0, v6, 2.0, -v0
	v_fma_f32 v1, v7, 2.0, -v1
	;; [unrolled: 1-line block ×4, first 2 shown]
	ds_write2_b64 v85, v[0:1], v[6:7] offset0:128 offset1:224
	v_sub_f32_e32 v0, v10, v46
	v_sub_f32_e32 v1, v11, v47
	ds_write2_b64 v89, v[2:3], v[0:1] offset0:128 offset1:224
	v_sub_f32_e32 v2, v12, v48
	v_sub_f32_e32 v3, v13, v49
	v_fma_f32 v0, v10, 2.0, -v0
	v_fma_f32 v1, v11, 2.0, -v1
	;; [unrolled: 1-line block ×4, first 2 shown]
	ds_write2_b64 v79, v[0:1], v[6:7] offset0:64 offset1:160
	v_sub_f32_e32 v0, v14, v50
	v_sub_f32_e32 v1, v15, v51
	ds_write2_b64 v83, v[2:3], v[0:1] offset0:64 offset1:160
	v_sub_f32_e32 v2, v16, v52
	v_sub_f32_e32 v3, v17, v53
	v_fma_f32 v0, v14, 2.0, -v0
	v_fma_f32 v1, v15, 2.0, -v1
	;; [unrolled: 1-line block ×4, first 2 shown]
	ds_write2_b64 v88, v[0:1], v[6:7] offset1:96
	v_sub_f32_e32 v0, v18, v54
	v_sub_f32_e32 v1, v19, v55
	ds_write2_b64 v78, v[2:3], v[0:1] offset1:96
	v_sub_f32_e32 v2, v20, v56
	v_sub_f32_e32 v3, v21, v57
	v_fma_f32 v0, v18, 2.0, -v0
	v_fma_f32 v1, v19, 2.0, -v1
	;; [unrolled: 1-line block ×4, first 2 shown]
	v_sub_f32_e32 v8, v22, v58
	v_sub_f32_e32 v9, v23, v59
	;; [unrolled: 1-line block ×6, first 2 shown]
	v_fma_f32 v12, v22, 2.0, -v8
	v_fma_f32 v13, v23, 2.0, -v9
	;; [unrolled: 1-line block ×6, first 2 shown]
	ds_write2_b64 v82, v[0:1], v[6:7] offset0:64 offset1:160
	ds_write2_b64 v87, v[2:3], v[8:9] offset0:64 offset1:160
	;; [unrolled: 1-line block ×5, first 2 shown]
	s_waitcnt lgkmcnt(0)
	s_barrier
	s_and_saveexec_b64 s[4:5], s[0:1]
	s_cbranch_execz .LBB0_21
; %bb.20:
	v_mul_lo_u32 v0, s3, v64
	v_mul_lo_u32 v1, s2, v65
	v_mad_u64_u32 v[4:5], s[0:1], s2, v64, 0
	v_mov_b32_e32 v7, s11
	v_lshl_add_u32 v6, v62, 3, 0
	v_add3_u32 v5, v5, v1, v0
	v_lshlrev_b64 v[4:5], 3, v[4:5]
	ds_read2_b64 v[0:3], v6 offset1:96
	v_add_co_u32_e32 v8, vcc, s10, v4
	v_addc_co_u32_e32 v7, vcc, v7, v5, vcc
	v_lshlrev_b64 v[4:5], 3, v[60:61]
	v_add_co_u32_e32 v8, vcc, v8, v4
	v_addc_co_u32_e32 v7, vcc, v7, v5, vcc
	v_lshlrev_b64 v[4:5], 3, v[62:63]
	v_add_co_u32_e32 v4, vcc, v8, v4
	v_addc_co_u32_e32 v5, vcc, v7, v5, vcc
	s_waitcnt lgkmcnt(0)
	global_store_dwordx2 v[4:5], v[0:1], off
	v_add_u32_e32 v0, 0x60, v62
	v_mov_b32_e32 v1, v63
	v_lshlrev_b64 v[0:1], 3, v[0:1]
	v_add_u32_e32 v4, 0xc0, v62
	v_add_co_u32_e32 v0, vcc, v8, v0
	v_addc_co_u32_e32 v1, vcc, v7, v1, vcc
	global_store_dwordx2 v[0:1], v[2:3], off
	v_add_u32_e32 v0, 0x400, v6
	v_mov_b32_e32 v5, v63
	ds_read2_b64 v[0:3], v0 offset0:64 offset1:160
	v_lshlrev_b64 v[4:5], 3, v[4:5]
	v_add_co_u32_e32 v4, vcc, v8, v4
	v_addc_co_u32_e32 v5, vcc, v7, v5, vcc
	s_waitcnt lgkmcnt(0)
	global_store_dwordx2 v[4:5], v[0:1], off
	v_add_u32_e32 v0, 0x120, v62
	v_mov_b32_e32 v1, v63
	v_lshlrev_b64 v[0:1], 3, v[0:1]
	v_add_u32_e32 v4, 0x180, v62
	v_add_co_u32_e32 v0, vcc, v8, v0
	v_addc_co_u32_e32 v1, vcc, v7, v1, vcc
	global_store_dwordx2 v[0:1], v[2:3], off
	v_add_u32_e32 v0, 0x800, v6
	v_mov_b32_e32 v5, v63
	ds_read2_b64 v[0:3], v0 offset0:128 offset1:224
	v_lshlrev_b64 v[4:5], 3, v[4:5]
	v_add_co_u32_e32 v4, vcc, v8, v4
	v_addc_co_u32_e32 v5, vcc, v7, v5, vcc
	s_waitcnt lgkmcnt(0)
	global_store_dwordx2 v[4:5], v[0:1], off
	v_add_u32_e32 v0, 0x1e0, v62
	v_mov_b32_e32 v1, v63
	v_lshlrev_b64 v[0:1], 3, v[0:1]
	v_add_u32_e32 v4, 0x240, v62
	v_add_co_u32_e32 v0, vcc, v8, v0
	v_addc_co_u32_e32 v1, vcc, v7, v1, vcc
	global_store_dwordx2 v[0:1], v[2:3], off
	v_add_u32_e32 v0, 0x1000, v6
	v_mov_b32_e32 v5, v63
	ds_read2_b64 v[0:3], v0 offset0:64 offset1:160
	v_lshlrev_b64 v[4:5], 3, v[4:5]
	v_add_co_u32_e32 v4, vcc, v8, v4
	v_addc_co_u32_e32 v5, vcc, v7, v5, vcc
	s_waitcnt lgkmcnt(0)
	global_store_dwordx2 v[4:5], v[0:1], off
	v_add_u32_e32 v0, 0x2a0, v62
	v_mov_b32_e32 v1, v63
	v_lshlrev_b64 v[0:1], 3, v[0:1]
	v_add_u32_e32 v4, 0x300, v62
	v_add_co_u32_e32 v0, vcc, v8, v0
	v_addc_co_u32_e32 v1, vcc, v7, v1, vcc
	global_store_dwordx2 v[0:1], v[2:3], off
	v_add_u32_e32 v0, 0x1800, v6
	v_mov_b32_e32 v5, v63
	ds_read2_b64 v[0:3], v0 offset1:96
	v_lshlrev_b64 v[4:5], 3, v[4:5]
	v_add_co_u32_e32 v4, vcc, v8, v4
	v_addc_co_u32_e32 v5, vcc, v7, v5, vcc
	s_waitcnt lgkmcnt(0)
	global_store_dwordx2 v[4:5], v[0:1], off
	v_add_u32_e32 v0, 0x360, v62
	v_mov_b32_e32 v1, v63
	v_lshlrev_b64 v[0:1], 3, v[0:1]
	v_add_u32_e32 v4, 0x3c0, v62
	v_add_co_u32_e32 v0, vcc, v8, v0
	v_addc_co_u32_e32 v1, vcc, v7, v1, vcc
	global_store_dwordx2 v[0:1], v[2:3], off
	v_add_u32_e32 v0, 0x1c00, v6
	v_mov_b32_e32 v5, v63
	ds_read2_b64 v[0:3], v0 offset0:64 offset1:160
	v_lshlrev_b64 v[4:5], 3, v[4:5]
	v_add_co_u32_e32 v4, vcc, v8, v4
	v_addc_co_u32_e32 v5, vcc, v7, v5, vcc
	s_waitcnt lgkmcnt(0)
	global_store_dwordx2 v[4:5], v[0:1], off
	v_add_u32_e32 v0, 0x420, v62
	v_mov_b32_e32 v1, v63
	v_lshlrev_b64 v[0:1], 3, v[0:1]
	v_add_u32_e32 v4, 0x480, v62
	v_add_co_u32_e32 v0, vcc, v8, v0
	v_addc_co_u32_e32 v1, vcc, v7, v1, vcc
	global_store_dwordx2 v[0:1], v[2:3], off
	v_add_u32_e32 v0, 0x2000, v6
	v_mov_b32_e32 v5, v63
	ds_read2_b64 v[0:3], v0 offset0:128 offset1:224
	v_lshlrev_b64 v[4:5], 3, v[4:5]
	v_add_co_u32_e32 v4, vcc, v8, v4
	v_addc_co_u32_e32 v5, vcc, v7, v5, vcc
	s_waitcnt lgkmcnt(0)
	global_store_dwordx2 v[4:5], v[0:1], off
	v_add_u32_e32 v0, 0x4e0, v62
	v_mov_b32_e32 v1, v63
	v_lshlrev_b64 v[0:1], 3, v[0:1]
	v_add_u32_e32 v4, 0x540, v62
	v_add_co_u32_e32 v0, vcc, v8, v0
	v_addc_co_u32_e32 v1, vcc, v7, v1, vcc
	global_store_dwordx2 v[0:1], v[2:3], off
	v_add_u32_e32 v0, 0x2800, v6
	v_mov_b32_e32 v5, v63
	ds_read2_b64 v[0:3], v0 offset0:64 offset1:160
	v_lshlrev_b64 v[4:5], 3, v[4:5]
	v_add_co_u32_e32 v4, vcc, v8, v4
	v_addc_co_u32_e32 v5, vcc, v7, v5, vcc
	s_waitcnt lgkmcnt(0)
	global_store_dwordx2 v[4:5], v[0:1], off
	v_add_u32_e32 v0, 0x5a0, v62
	v_mov_b32_e32 v1, v63
	v_lshlrev_b64 v[0:1], 3, v[0:1]
	v_add_u32_e32 v4, 0x600, v62
	v_add_co_u32_e32 v0, vcc, v8, v0
	v_addc_co_u32_e32 v1, vcc, v7, v1, vcc
	global_store_dwordx2 v[0:1], v[2:3], off
	v_add_u32_e32 v0, 0x3000, v6
	v_mov_b32_e32 v5, v63
	ds_read2_b64 v[0:3], v0 offset1:96
	;; [unrolled: 60-line block ×3, first 2 shown]
	v_lshlrev_b64 v[4:5], 3, v[4:5]
	v_add_co_u32_e32 v4, vcc, v8, v4
	v_addc_co_u32_e32 v5, vcc, v7, v5, vcc
	s_waitcnt lgkmcnt(0)
	global_store_dwordx2 v[4:5], v[0:1], off
	v_add_u32_e32 v0, 0x960, v62
	v_mov_b32_e32 v1, v63
	v_lshlrev_b64 v[0:1], 3, v[0:1]
	v_add_u32_e32 v4, 0x9c0, v62
	v_add_co_u32_e32 v0, vcc, v8, v0
	v_addc_co_u32_e32 v1, vcc, v7, v1, vcc
	global_store_dwordx2 v[0:1], v[2:3], off
	v_add_u32_e32 v0, 0x4c00, v6
	v_mov_b32_e32 v5, v63
	ds_read2_b64 v[0:3], v0 offset0:64 offset1:160
	v_lshlrev_b64 v[4:5], 3, v[4:5]
	v_add_co_u32_e32 v4, vcc, v8, v4
	v_addc_co_u32_e32 v5, vcc, v7, v5, vcc
	s_waitcnt lgkmcnt(0)
	global_store_dwordx2 v[4:5], v[0:1], off
	v_add_u32_e32 v0, 0xa20, v62
	v_mov_b32_e32 v1, v63
	v_lshlrev_b64 v[0:1], 3, v[0:1]
	v_add_u32_e32 v4, 0xa80, v62
	v_add_co_u32_e32 v0, vcc, v8, v0
	v_addc_co_u32_e32 v1, vcc, v7, v1, vcc
	global_store_dwordx2 v[0:1], v[2:3], off
	v_add_u32_e32 v0, 0x5000, v6
	v_mov_b32_e32 v5, v63
	ds_read2_b64 v[0:3], v0 offset0:128 offset1:224
	v_lshlrev_b64 v[4:5], 3, v[4:5]
	v_add_u32_e32 v62, 0xae0, v62
	v_add_co_u32_e32 v4, vcc, v8, v4
	v_addc_co_u32_e32 v5, vcc, v7, v5, vcc
	s_waitcnt lgkmcnt(0)
	global_store_dwordx2 v[4:5], v[0:1], off
	v_lshlrev_b64 v[0:1], 3, v[62:63]
	v_add_co_u32_e32 v0, vcc, v8, v0
	v_addc_co_u32_e32 v1, vcc, v7, v1, vcc
	global_store_dwordx2 v[0:1], v[2:3], off
.LBB0_21:
	s_endpgm
	.section	.rodata,"a",@progbits
	.p2align	6, 0x0
	.amdhsa_kernel fft_rtc_fwd_len2880_factors_10_6_6_2_2_2_wgs_96_tpt_96_halfLds_sp_op_CI_CI_unitstride_sbrr_C2R_dirReg
		.amdhsa_group_segment_fixed_size 0
		.amdhsa_private_segment_fixed_size 0
		.amdhsa_kernarg_size 104
		.amdhsa_user_sgpr_count 6
		.amdhsa_user_sgpr_private_segment_buffer 1
		.amdhsa_user_sgpr_dispatch_ptr 0
		.amdhsa_user_sgpr_queue_ptr 0
		.amdhsa_user_sgpr_kernarg_segment_ptr 1
		.amdhsa_user_sgpr_dispatch_id 0
		.amdhsa_user_sgpr_flat_scratch_init 0
		.amdhsa_user_sgpr_private_segment_size 0
		.amdhsa_uses_dynamic_stack 0
		.amdhsa_system_sgpr_private_segment_wavefront_offset 0
		.amdhsa_system_sgpr_workgroup_id_x 1
		.amdhsa_system_sgpr_workgroup_id_y 0
		.amdhsa_system_sgpr_workgroup_id_z 0
		.amdhsa_system_sgpr_workgroup_info 0
		.amdhsa_system_vgpr_workitem_id 0
		.amdhsa_next_free_vgpr 121
		.amdhsa_next_free_sgpr 28
		.amdhsa_reserve_vcc 1
		.amdhsa_reserve_flat_scratch 0
		.amdhsa_float_round_mode_32 0
		.amdhsa_float_round_mode_16_64 0
		.amdhsa_float_denorm_mode_32 3
		.amdhsa_float_denorm_mode_16_64 3
		.amdhsa_dx10_clamp 1
		.amdhsa_ieee_mode 1
		.amdhsa_fp16_overflow 0
		.amdhsa_exception_fp_ieee_invalid_op 0
		.amdhsa_exception_fp_denorm_src 0
		.amdhsa_exception_fp_ieee_div_zero 0
		.amdhsa_exception_fp_ieee_overflow 0
		.amdhsa_exception_fp_ieee_underflow 0
		.amdhsa_exception_fp_ieee_inexact 0
		.amdhsa_exception_int_div_zero 0
	.end_amdhsa_kernel
	.text
.Lfunc_end0:
	.size	fft_rtc_fwd_len2880_factors_10_6_6_2_2_2_wgs_96_tpt_96_halfLds_sp_op_CI_CI_unitstride_sbrr_C2R_dirReg, .Lfunc_end0-fft_rtc_fwd_len2880_factors_10_6_6_2_2_2_wgs_96_tpt_96_halfLds_sp_op_CI_CI_unitstride_sbrr_C2R_dirReg
                                        ; -- End function
	.section	.AMDGPU.csdata,"",@progbits
; Kernel info:
; codeLenInByte = 17956
; NumSgprs: 32
; NumVgprs: 121
; ScratchSize: 0
; MemoryBound: 0
; FloatMode: 240
; IeeeMode: 1
; LDSByteSize: 0 bytes/workgroup (compile time only)
; SGPRBlocks: 3
; VGPRBlocks: 30
; NumSGPRsForWavesPerEU: 32
; NumVGPRsForWavesPerEU: 121
; Occupancy: 2
; WaveLimiterHint : 1
; COMPUTE_PGM_RSRC2:SCRATCH_EN: 0
; COMPUTE_PGM_RSRC2:USER_SGPR: 6
; COMPUTE_PGM_RSRC2:TRAP_HANDLER: 0
; COMPUTE_PGM_RSRC2:TGID_X_EN: 1
; COMPUTE_PGM_RSRC2:TGID_Y_EN: 0
; COMPUTE_PGM_RSRC2:TGID_Z_EN: 0
; COMPUTE_PGM_RSRC2:TIDIG_COMP_CNT: 0
	.type	__hip_cuid_bd70b20bcf582888,@object ; @__hip_cuid_bd70b20bcf582888
	.section	.bss,"aw",@nobits
	.globl	__hip_cuid_bd70b20bcf582888
__hip_cuid_bd70b20bcf582888:
	.byte	0                               ; 0x0
	.size	__hip_cuid_bd70b20bcf582888, 1

	.ident	"AMD clang version 19.0.0git (https://github.com/RadeonOpenCompute/llvm-project roc-6.4.0 25133 c7fe45cf4b819c5991fe208aaa96edf142730f1d)"
	.section	".note.GNU-stack","",@progbits
	.addrsig
	.addrsig_sym __hip_cuid_bd70b20bcf582888
	.amdgpu_metadata
---
amdhsa.kernels:
  - .args:
      - .actual_access:  read_only
        .address_space:  global
        .offset:         0
        .size:           8
        .value_kind:     global_buffer
      - .offset:         8
        .size:           8
        .value_kind:     by_value
      - .actual_access:  read_only
        .address_space:  global
        .offset:         16
        .size:           8
        .value_kind:     global_buffer
      - .actual_access:  read_only
        .address_space:  global
        .offset:         24
        .size:           8
        .value_kind:     global_buffer
      - .actual_access:  read_only
        .address_space:  global
        .offset:         32
        .size:           8
        .value_kind:     global_buffer
      - .offset:         40
        .size:           8
        .value_kind:     by_value
      - .actual_access:  read_only
        .address_space:  global
        .offset:         48
        .size:           8
        .value_kind:     global_buffer
      - .actual_access:  read_only
        .address_space:  global
        .offset:         56
        .size:           8
        .value_kind:     global_buffer
      - .offset:         64
        .size:           4
        .value_kind:     by_value
      - .actual_access:  read_only
        .address_space:  global
        .offset:         72
        .size:           8
        .value_kind:     global_buffer
      - .actual_access:  read_only
        .address_space:  global
        .offset:         80
        .size:           8
        .value_kind:     global_buffer
      - .actual_access:  read_only
        .address_space:  global
        .offset:         88
        .size:           8
        .value_kind:     global_buffer
      - .actual_access:  write_only
        .address_space:  global
        .offset:         96
        .size:           8
        .value_kind:     global_buffer
    .group_segment_fixed_size: 0
    .kernarg_segment_align: 8
    .kernarg_segment_size: 104
    .language:       OpenCL C
    .language_version:
      - 2
      - 0
    .max_flat_workgroup_size: 96
    .name:           fft_rtc_fwd_len2880_factors_10_6_6_2_2_2_wgs_96_tpt_96_halfLds_sp_op_CI_CI_unitstride_sbrr_C2R_dirReg
    .private_segment_fixed_size: 0
    .sgpr_count:     32
    .sgpr_spill_count: 0
    .symbol:         fft_rtc_fwd_len2880_factors_10_6_6_2_2_2_wgs_96_tpt_96_halfLds_sp_op_CI_CI_unitstride_sbrr_C2R_dirReg.kd
    .uniform_work_group_size: 1
    .uses_dynamic_stack: false
    .vgpr_count:     121
    .vgpr_spill_count: 0
    .wavefront_size: 64
amdhsa.target:   amdgcn-amd-amdhsa--gfx906
amdhsa.version:
  - 1
  - 2
...

	.end_amdgpu_metadata
